;; amdgpu-corpus repo=ROCm/rocFFT kind=compiled arch=gfx906 opt=O3
	.text
	.amdgcn_target "amdgcn-amd-amdhsa--gfx906"
	.amdhsa_code_object_version 6
	.protected	bluestein_single_back_len1890_dim1_dp_op_CI_CI ; -- Begin function bluestein_single_back_len1890_dim1_dp_op_CI_CI
	.globl	bluestein_single_back_len1890_dim1_dp_op_CI_CI
	.p2align	8
	.type	bluestein_single_back_len1890_dim1_dp_op_CI_CI,@function
bluestein_single_back_len1890_dim1_dp_op_CI_CI: ; @bluestein_single_back_len1890_dim1_dp_op_CI_CI
; %bb.0:
	s_load_dwordx4 s[12:15], s[4:5], 0x28
	s_mov_b64 s[42:43], s[2:3]
	v_mul_u32_u24_e32 v1, 0x209, v0
	s_mov_b64 s[40:41], s[0:1]
	v_add_u32_sdwa v4, s6, v1 dst_sel:DWORD dst_unused:UNUSED_PAD src0_sel:DWORD src1_sel:WORD_1
	v_mov_b32_e32 v5, 0
	s_add_u32 s40, s40, s7
	s_waitcnt lgkmcnt(0)
	v_cmp_gt_u64_e32 vcc, s[12:13], v[4:5]
	s_addc_u32 s41, s41, 0
	s_and_saveexec_b64 s[0:1], vcc
	s_cbranch_execz .LBB0_23
; %bb.1:
	s_load_dwordx4 s[0:3], s[4:5], 0x18
	s_load_dwordx2 s[16:17], s[4:5], 0x0
	v_mov_b32_e32 v5, v4
	s_waitcnt lgkmcnt(0)
	s_load_dwordx4 s[8:11], s[0:1], 0x0
	s_movk_i32 s0, 0x7e
	v_mul_lo_u16_sdwa v1, v1, s0 dst_sel:DWORD dst_unused:UNUSED_PAD src0_sel:WORD_1 src1_sel:DWORD
	v_sub_u16_e32 v103, v0, v1
	buffer_store_dword v5, off, s[40:43], 0 offset:164 ; 4-byte Folded Spill
	s_nop 0
	buffer_store_dword v6, off, s[40:43], 0 offset:168 ; 4-byte Folded Spill
	s_waitcnt lgkmcnt(0)
	v_mad_u64_u32 v[0:1], s[0:1], s10, v4, 0
	v_mad_u64_u32 v[2:3], s[0:1], s8, v103, 0
	v_lshlrev_b32_e32 v90, 4, v103
	v_add_co_u32_e64 v88, s[6:7], s16, v90
	v_mad_u64_u32 v[4:5], s[0:1], s11, v4, v[1:2]
	v_mad_u64_u32 v[5:6], s[0:1], s9, v103, v[3:4]
	v_mov_b32_e32 v1, v4
	v_lshlrev_b64 v[0:1], 4, v[0:1]
	v_mov_b32_e32 v6, s15
	v_mov_b32_e32 v3, v5
	v_add_co_u32_e32 v4, vcc, s14, v0
	v_addc_co_u32_e32 v5, vcc, v6, v1, vcc
	v_lshlrev_b64 v[0:1], 4, v[2:3]
	s_mul_i32 s0, s9, 0x3b1
	s_mul_hi_u32 s1, s8, 0x3b1
	v_add_co_u32_e32 v0, vcc, v4, v0
	v_mov_b32_e32 v2, s17
	s_add_i32 s1, s1, s0
	s_mul_i32 s0, s8, 0x3b1
	v_addc_co_u32_e32 v1, vcc, v5, v1, vcc
	v_addc_co_u32_e64 v51, vcc, 0, v2, s[6:7]
	s_lshl_b64 s[14:15], s[0:1], 4
	v_mov_b32_e32 v56, s15
	v_add_co_u32_e32 v10, vcc, s14, v0
	v_addc_co_u32_e32 v11, vcc, v1, v56, vcc
	s_movk_i32 s0, 0x3000
	global_load_dwordx4 v[2:5], v[0:1], off
	global_load_dwordx4 v[6:9], v[10:11], off
	v_add_co_u32_e32 v0, vcc, s0, v88
	v_addc_co_u32_e32 v1, vcc, 0, v51, vcc
	global_load_dwordx4 v[66:69], v[0:1], off offset:2832
	global_load_dwordx4 v[70:73], v90, s[16:17]
	global_load_dwordx4 v[74:77], v90, s[16:17] offset:2016
	s_mul_hi_u32 s1, s8, 0xfffffccd
	s_mul_i32 s0, s9, 0xfffffccd
	s_sub_i32 s1, s1, s8
	s_add_i32 s1, s1, s0
	s_mul_i32 s0, s8, 0xfffffccd
	s_lshl_b64 s[18:19], s[0:1], 4
	v_mov_b32_e32 v50, s19
	v_add_co_u32_e32 v0, vcc, s18, v10
	v_addc_co_u32_e32 v1, vcc, v11, v50, vcc
	v_add_co_u32_e32 v18, vcc, s14, v0
	v_addc_co_u32_e32 v19, vcc, v1, v56, vcc
	s_movk_i32 s0, 0x4000
	global_load_dwordx4 v[10:13], v[0:1], off
	global_load_dwordx4 v[14:17], v[18:19], off
	v_add_co_u32_e32 v0, vcc, s0, v88
	v_addc_co_u32_e32 v1, vcc, 0, v51, vcc
	v_add_co_u32_e32 v22, vcc, s18, v18
	v_addc_co_u32_e32 v23, vcc, v19, v50, vcc
	;; [unrolled: 2-line block ×3, first 2 shown]
	global_load_dwordx4 v[18:21], v[22:23], off
	global_load_dwordx4 v[78:81], v90, s[16:17] offset:4032
	s_nop 0
	global_load_dwordx4 v[22:25], v[26:27], off
	global_load_dwordx4 v[91:94], v[0:1], off offset:752
	global_load_dwordx4 v[82:85], v[0:1], off offset:2768
	v_add_co_u32_e32 v0, vcc, s18, v26
	v_addc_co_u32_e32 v1, vcc, v27, v50, vcc
	s_movk_i32 s0, 0x1000
	v_add_co_u32_e32 v38, vcc, s0, v88
	v_addc_co_u32_e32 v39, vcc, 0, v51, vcc
	global_load_dwordx4 v[26:29], v[0:1], off
	v_add_co_u32_e32 v0, vcc, s14, v0
	v_addc_co_u32_e32 v1, vcc, v1, v56, vcc
	s_movk_i32 s0, 0x5000
	v_add_co_u32_e32 v42, vcc, s0, v88
	v_addc_co_u32_e32 v43, vcc, 0, v51, vcc
	global_load_dwordx4 v[30:33], v[0:1], off
	v_add_co_u32_e32 v0, vcc, s18, v0
	v_addc_co_u32_e32 v1, vcc, v1, v50, vcc
	global_load_dwordx4 v[34:37], v[0:1], off
	global_load_dwordx4 v[99:102], v[38:39], off offset:1952
	global_load_dwordx4 v[95:98], v[38:39], off offset:3968
	v_add_co_u32_e32 v0, vcc, s14, v0
	v_addc_co_u32_e32 v1, vcc, v1, v56, vcc
	global_load_dwordx4 v[38:41], v[0:1], off
	global_load_dwordx4 v[108:111], v[42:43], off offset:688
	global_load_dwordx4 v[104:107], v[42:43], off offset:2704
	v_add_co_u32_e32 v0, vcc, s18, v0
	v_addc_co_u32_e32 v1, vcc, v1, v50, vcc
	s_movk_i32 s0, 0x2000
	v_add_co_u32_e32 v54, vcc, s0, v88
	v_addc_co_u32_e32 v55, vcc, 0, v51, vcc
	global_load_dwordx4 v[42:45], v[0:1], off
	v_add_co_u32_e32 v0, vcc, s14, v0
	v_addc_co_u32_e32 v1, vcc, v1, v56, vcc
	s_movk_i32 s0, 0x6000
	v_add_co_u32_e32 v58, vcc, s0, v88
	v_addc_co_u32_e32 v59, vcc, 0, v51, vcc
	global_load_dwordx4 v[46:49], v[0:1], off
	v_add_co_u32_e32 v0, vcc, s18, v0
	buffer_store_dword v51, off, s[40:43], 0 offset:80 ; 4-byte Folded Spill
	v_addc_co_u32_e32 v1, vcc, v1, v50, vcc
	global_load_dwordx4 v[112:115], v[58:59], off offset:624
	global_load_dwordx4 v[50:53], v[0:1], off
	global_load_dwordx4 v[124:127], v[54:55], off offset:1888
	global_load_dwordx4 v[116:119], v[54:55], off offset:3904
	v_add_co_u32_e32 v0, vcc, s14, v0
	v_addc_co_u32_e32 v1, vcc, v1, v56, vcc
	global_load_dwordx4 v[54:57], v[0:1], off
	global_load_dwordx4 v[120:123], v[58:59], off offset:2640
	s_waitcnt vmcnt(25)
	v_mul_f64 v[58:59], v[4:5], v[72:73]
	v_mul_f64 v[62:63], v[8:9], v[68:69]
	;; [unrolled: 1-line block ×4, first 2 shown]
	v_cmp_gt_u16_e64 s[0:1], 63, v103
	v_fma_f64 v[2:3], v[2:3], v[70:71], v[58:59]
	buffer_store_dword v70, off, s[40:43], 0 offset:300 ; 4-byte Folded Spill
	s_nop 0
	buffer_store_dword v71, off, s[40:43], 0 offset:304 ; 4-byte Folded Spill
	buffer_store_dword v72, off, s[40:43], 0 offset:308 ; 4-byte Folded Spill
	;; [unrolled: 1-line block ×3, first 2 shown]
	v_fma_f64 v[6:7], v[6:7], v[66:67], v[62:63]
	buffer_store_dword v66, off, s[40:43], 0 offset:84 ; 4-byte Folded Spill
	s_nop 0
	buffer_store_dword v67, off, s[40:43], 0 offset:88 ; 4-byte Folded Spill
	buffer_store_dword v68, off, s[40:43], 0 offset:92 ; 4-byte Folded Spill
	;; [unrolled: 1-line block ×3, first 2 shown]
	s_waitcnt vmcnt(31)
	v_mul_f64 v[58:59], v[12:13], v[76:77]
	s_waitcnt vmcnt(26)
	v_mul_f64 v[62:63], v[16:17], v[93:94]
	v_mul_f64 v[68:69], v[18:19], v[80:81]
	s_waitcnt vmcnt(25)
	v_mul_f64 v[72:73], v[22:23], v[84:85]
	v_fma_f64 v[4:5], v[4:5], v[70:71], -v[60:61]
	v_mul_f64 v[70:71], v[24:25], v[84:85]
	v_fma_f64 v[8:9], v[8:9], v[66:67], -v[64:65]
	v_mul_f64 v[66:67], v[20:21], v[80:81]
	v_mul_f64 v[60:61], v[10:11], v[76:77]
	v_fma_f64 v[10:11], v[10:11], v[74:75], v[58:59]
	buffer_store_dword v74, off, s[40:43], 0 offset:100 ; 4-byte Folded Spill
	s_nop 0
	buffer_store_dword v75, off, s[40:43], 0 offset:104 ; 4-byte Folded Spill
	buffer_store_dword v76, off, s[40:43], 0 offset:108 ; 4-byte Folded Spill
	;; [unrolled: 1-line block ×3, first 2 shown]
	v_mul_f64 v[64:65], v[14:15], v[93:94]
	v_fma_f64 v[14:15], v[14:15], v[91:92], v[62:63]
	buffer_store_dword v91, off, s[40:43], 0 offset:148 ; 4-byte Folded Spill
	s_nop 0
	buffer_store_dword v92, off, s[40:43], 0 offset:152 ; 4-byte Folded Spill
	buffer_store_dword v93, off, s[40:43], 0 offset:156 ; 4-byte Folded Spill
	;; [unrolled: 1-line block ×3, first 2 shown]
	v_fma_f64 v[22:23], v[22:23], v[82:83], v[70:71]
	v_fma_f64 v[18:19], v[18:19], v[78:79], v[66:67]
	buffer_store_dword v78, off, s[40:43], 0 offset:116 ; 4-byte Folded Spill
	s_nop 0
	buffer_store_dword v79, off, s[40:43], 0 offset:120 ; 4-byte Folded Spill
	buffer_store_dword v80, off, s[40:43], 0 offset:124 ; 4-byte Folded Spill
	;; [unrolled: 1-line block ×4, first 2 shown]
	s_nop 0
	buffer_store_dword v83, off, s[40:43], 0 offset:136 ; 4-byte Folded Spill
	buffer_store_dword v84, off, s[40:43], 0 offset:140 ; 4-byte Folded Spill
	;; [unrolled: 1-line block ×3, first 2 shown]
	s_load_dwordx2 s[12:13], s[4:5], 0x38
	s_load_dwordx4 s[8:11], s[2:3], 0x0
	v_fma_f64 v[12:13], v[12:13], v[74:75], -v[60:61]
	v_fma_f64 v[16:17], v[16:17], v[91:92], -v[64:65]
	v_fma_f64 v[20:21], v[20:21], v[78:79], -v[68:69]
	v_fma_f64 v[24:25], v[24:25], v[82:83], -v[72:73]
	ds_write_b128 v90, v[2:5]
	ds_write_b128 v90, v[6:9] offset:15120
	ds_write_b128 v90, v[10:13] offset:2016
	;; [unrolled: 1-line block ×5, first 2 shown]
	s_waitcnt vmcnt(37)
	v_mul_f64 v[2:3], v[28:29], v[101:102]
	s_waitcnt vmcnt(34)
	v_mul_f64 v[6:7], v[32:33], v[110:111]
	v_mul_f64 v[4:5], v[26:27], v[101:102]
	;; [unrolled: 1-line block ×4, first 2 shown]
	s_waitcnt vmcnt(33)
	v_mul_f64 v[14:15], v[40:41], v[106:107]
	s_waitcnt vmcnt(27)
	v_mul_f64 v[18:19], v[44:45], v[126:127]
	v_mul_f64 v[22:23], v[48:49], v[114:115]
	v_fma_f64 v[2:3], v[26:27], v[99:100], v[2:3]
	buffer_store_dword v99, off, s[40:43], 0 offset:188 ; 4-byte Folded Spill
	s_nop 0
	buffer_store_dword v100, off, s[40:43], 0 offset:192 ; 4-byte Folded Spill
	buffer_store_dword v101, off, s[40:43], 0 offset:196 ; 4-byte Folded Spill
	;; [unrolled: 1-line block ×3, first 2 shown]
	v_fma_f64 v[6:7], v[30:31], v[108:109], v[6:7]
	buffer_store_dword v108, off, s[40:43], 0 offset:220 ; 4-byte Folded Spill
	s_nop 0
	buffer_store_dword v109, off, s[40:43], 0 offset:224 ; 4-byte Folded Spill
	buffer_store_dword v110, off, s[40:43], 0 offset:228 ; 4-byte Folded Spill
	;; [unrolled: 1-line block ×3, first 2 shown]
	s_waitcnt vmcnt(34)
	v_mul_f64 v[26:27], v[52:53], v[118:119]
	s_waitcnt vmcnt(32)
	v_mul_f64 v[30:31], v[56:57], v[122:123]
	v_mul_f64 v[12:13], v[34:35], v[97:98]
	v_fma_f64 v[10:11], v[34:35], v[95:96], v[10:11]
	buffer_store_dword v95, off, s[40:43], 0 offset:172 ; 4-byte Folded Spill
	s_nop 0
	buffer_store_dword v96, off, s[40:43], 0 offset:176 ; 4-byte Folded Spill
	buffer_store_dword v97, off, s[40:43], 0 offset:180 ; 4-byte Folded Spill
	buffer_store_dword v98, off, s[40:43], 0 offset:184 ; 4-byte Folded Spill
	v_mul_f64 v[16:17], v[38:39], v[106:107]
	v_fma_f64 v[14:15], v[38:39], v[104:105], v[14:15]
	buffer_store_dword v104, off, s[40:43], 0 offset:204 ; 4-byte Folded Spill
	s_nop 0
	buffer_store_dword v105, off, s[40:43], 0 offset:208 ; 4-byte Folded Spill
	buffer_store_dword v106, off, s[40:43], 0 offset:212 ; 4-byte Folded Spill
	buffer_store_dword v107, off, s[40:43], 0 offset:216 ; 4-byte Folded Spill
	;; [unrolled: 7-line block ×4, first 2 shown]
	v_fma_f64 v[26:27], v[50:51], v[116:117], v[26:27]
	v_fma_f64 v[30:31], v[54:55], v[120:121], v[30:31]
	v_fma_f64 v[4:5], v[28:29], v[99:100], -v[4:5]
	v_mul_f64 v[28:29], v[50:51], v[118:119]
	buffer_store_dword v116, off, s[40:43], 0 offset:252 ; 4-byte Folded Spill
	s_nop 0
	buffer_store_dword v117, off, s[40:43], 0 offset:256 ; 4-byte Folded Spill
	buffer_store_dword v118, off, s[40:43], 0 offset:260 ; 4-byte Folded Spill
	;; [unrolled: 1-line block ×3, first 2 shown]
	v_fma_f64 v[8:9], v[32:33], v[108:109], -v[8:9]
	v_mul_f64 v[32:33], v[54:55], v[122:123]
	buffer_store_dword v120, off, s[40:43], 0 offset:268 ; 4-byte Folded Spill
	s_nop 0
	buffer_store_dword v121, off, s[40:43], 0 offset:272 ; 4-byte Folded Spill
	buffer_store_dword v122, off, s[40:43], 0 offset:276 ; 4-byte Folded Spill
	;; [unrolled: 1-line block ×3, first 2 shown]
	v_fma_f64 v[12:13], v[36:37], v[95:96], -v[12:13]
	v_fma_f64 v[16:17], v[40:41], v[104:105], -v[16:17]
	;; [unrolled: 1-line block ×6, first 2 shown]
	ds_write_b128 v90, v[2:5] offset:6048
	ds_write_b128 v90, v[6:9] offset:21168
	;; [unrolled: 1-line block ×8, first 2 shown]
	s_and_saveexec_b64 s[2:3], s[0:1]
	s_cbranch_execz .LBB0_3
; %bb.2:
	buffer_load_dword v11, off, s[40:43], 0 offset:80 ; 4-byte Folded Reload
	v_mov_b32_e32 v2, s19
	v_add_co_u32_e32 v8, vcc, s18, v0
	v_addc_co_u32_e32 v9, vcc, v1, v2, vcc
	v_add_co_u32_e32 v4, vcc, 0x3000, v88
	v_mov_b32_e32 v10, s15
	global_load_dwordx4 v[0:3], v[8:9], off
	s_waitcnt vmcnt(1)
	v_addc_co_u32_e32 v5, vcc, 0, v11, vcc
	v_add_co_u32_e32 v16, vcc, s14, v8
	v_addc_co_u32_e32 v17, vcc, v9, v10, vcc
	s_movk_i32 s14, 0x7000
	v_add_co_u32_e32 v18, vcc, s14, v88
	global_load_dwordx4 v[4:7], v[4:5], off offset:1824
	v_addc_co_u32_e32 v19, vcc, 0, v11, vcc
	global_load_dwordx4 v[8:11], v[18:19], off offset:560
	global_load_dwordx4 v[12:15], v[16:17], off
	s_waitcnt vmcnt(2)
	v_mul_f64 v[16:17], v[2:3], v[6:7]
	v_mul_f64 v[6:7], v[0:1], v[6:7]
	s_waitcnt vmcnt(0)
	v_mul_f64 v[18:19], v[14:15], v[10:11]
	v_mul_f64 v[10:11], v[12:13], v[10:11]
	v_fma_f64 v[0:1], v[0:1], v[4:5], v[16:17]
	v_fma_f64 v[2:3], v[2:3], v[4:5], -v[6:7]
	v_fma_f64 v[4:5], v[12:13], v[8:9], v[18:19]
	v_fma_f64 v[6:7], v[14:15], v[8:9], -v[10:11]
	ds_write_b128 v90, v[0:3] offset:14112
	ds_write_b128 v90, v[4:7] offset:29232
.LBB0_3:
	s_or_b64 exec, exec, s[2:3]
	s_waitcnt vmcnt(0) lgkmcnt(0)
	s_barrier
	ds_read_b128 v[44:47], v90
	ds_read_b128 v[48:51], v90 offset:2016
	ds_read_b128 v[56:59], v90 offset:17136
	;; [unrolled: 1-line block ×13, first 2 shown]
	s_load_dwordx2 s[4:5], s[4:5], 0x8
                                        ; implicit-def: $vgpr4_vgpr5
                                        ; implicit-def: $vgpr20_vgpr21
	s_and_saveexec_b64 s[2:3], s[0:1]
	s_cbranch_execz .LBB0_5
; %bb.4:
	ds_read_b128 v[4:7], v90 offset:14112
	ds_read_b128 v[20:23], v90 offset:29232
.LBB0_5:
	s_or_b64 exec, exec, s[2:3]
	s_waitcnt lgkmcnt(0)
	v_add_f64 v[60:61], v[44:45], -v[60:61]
	v_add_f64 v[62:63], v[46:47], -v[62:63]
	;; [unrolled: 1-line block ×14, first 2 shown]
	v_fma_f64 v[44:45], v[44:45], 2.0, -v[60:61]
	v_fma_f64 v[46:47], v[46:47], 2.0, -v[62:63]
	;; [unrolled: 1-line block ×14, first 2 shown]
	v_add_f64 v[0:1], v[4:5], -v[20:21]
	v_add_f64 v[2:3], v[6:7], -v[22:23]
	s_movk_i32 s2, 0x7e
	v_lshlrev_b16_e32 v20, 1, v103
	v_add_co_u32_e32 v244, vcc, s2, v103
	s_movk_i32 s2, 0xfc
	v_lshlrev_b32_e32 v20, 4, v20
	v_add_co_u32_e32 v89, vcc, s2, v103
	s_movk_i32 s2, 0x17a
	s_barrier
	ds_write_b128 v20, v[44:47]
	buffer_store_dword v20, off, s[40:43], 0 offset:476 ; 4-byte Folded Spill
	ds_write_b128 v20, v[60:63] offset:16
	v_lshlrev_b32_e32 v20, 5, v244
	v_add_co_u32_e32 v65, vcc, s2, v103
	s_movk_i32 s2, 0x1f8
	ds_write_b128 v20, v[48:51]
	buffer_store_dword v20, off, s[40:43], 0 offset:480 ; 4-byte Folded Spill
	ds_write_b128 v20, v[56:59] offset:16
	v_lshlrev_b32_e32 v20, 5, v89
	v_add_co_u32_e32 v64, vcc, s2, v103
	s_movk_i32 s2, 0x372
	ds_write_b128 v20, v[40:43]
	buffer_store_dword v20, off, s[40:43], 0 offset:484 ; 4-byte Folded Spill
	ds_write_b128 v20, v[52:55] offset:16
	v_lshlrev_b32_e32 v20, 5, v65
	v_add_co_u32_e32 v70, vcc, s2, v103
	ds_write_b128 v20, v[8:11]
	v_lshlrev_b32_e32 v8, 5, v64
	v_lshlrev_b32_e32 v71, 5, v103
	buffer_store_dword v20, off, s[40:43], 0 offset:488 ; 4-byte Folded Spill
	ds_write_b128 v20, v[36:39] offset:16
	ds_write_b128 v8, v[16:19]
	buffer_store_dword v8, off, s[40:43], 0 offset:492 ; 4-byte Folded Spill
	ds_write_b128 v8, v[32:35] offset:16
	ds_write_b128 v71, v[12:15] offset:20160
	;; [unrolled: 1-line block ×4, first 2 shown]
	v_lshlrev_b32_e32 v8, 5, v70
	buffer_store_dword v71, off, s[40:43], 0 offset:500 ; 4-byte Folded Spill
	ds_write_b128 v71, v[24:27] offset:24208
	buffer_store_dword v8, off, s[40:43], 0 offset:472 ; 4-byte Folded Spill
	s_and_saveexec_b64 s[2:3], s[0:1]
	s_cbranch_execz .LBB0_7
; %bb.6:
	buffer_load_dword v8, off, s[40:43], 0 offset:472 ; 4-byte Folded Reload
	v_fma_f64 v[6:7], v[6:7], 2.0, -v[2:3]
	v_fma_f64 v[4:5], v[4:5], 2.0, -v[0:1]
	s_waitcnt vmcnt(0)
	ds_write_b128 v8, v[4:7]
	ds_write_b128 v8, v[0:3] offset:16
.LBB0_7:
	s_or_b64 exec, exec, s[2:3]
	v_and_b32_e32 v109, 1, v103
	v_lshlrev_b32_e32 v4, 5, v109
	s_waitcnt vmcnt(0) lgkmcnt(0)
	s_barrier
	global_load_dwordx4 v[212:215], v4, s[4:5]
	global_load_dwordx4 v[208:211], v4, s[4:5] offset:16
	ds_read_b128 v[4:7], v90
	ds_read_b128 v[8:11], v90 offset:2016
	ds_read_b128 v[12:15], v90 offset:20160
	;; [unrolled: 1-line block ×14, first 2 shown]
	v_mov_b32_e32 v110, v103
	s_mov_b32 s2, 0xe8584caa
	s_mov_b32 s3, 0x3febb67a
	;; [unrolled: 1-line block ×4, first 2 shown]
	s_waitcnt vmcnt(0) lgkmcnt(0)
	s_barrier
	s_movk_i32 s16, 0xab
	v_mul_f64 v[66:67], v[46:47], v[214:215]
	v_mul_f64 v[68:69], v[44:45], v[214:215]
	;; [unrolled: 1-line block ×16, first 2 shown]
	v_fma_f64 v[44:45], v[44:45], v[212:213], -v[66:67]
	v_fma_f64 v[46:47], v[46:47], v[212:213], v[68:69]
	v_fma_f64 v[12:13], v[12:13], v[208:209], -v[70:71]
	v_fma_f64 v[14:15], v[14:15], v[208:209], v[72:73]
	v_fma_f64 v[22:23], v[22:23], v[212:213], v[76:77]
	;; [unrolled: 1-line block ×3, first 2 shown]
	v_fma_f64 v[24:25], v[24:25], v[212:213], -v[82:83]
	v_fma_f64 v[36:37], v[36:37], v[208:209], -v[86:87]
	v_mul_f64 v[103:104], v[56:57], v[214:215]
	v_mul_f64 v[107:108], v[60:61], v[210:211]
	v_fma_f64 v[20:21], v[20:21], v[212:213], -v[74:75]
	v_fma_f64 v[16:17], v[16:17], v[208:209], -v[78:79]
	v_fma_f64 v[26:27], v[26:27], v[212:213], v[84:85]
	v_fma_f64 v[38:39], v[38:39], v[208:209], v[91:92]
	v_fma_f64 v[66:67], v[52:53], v[212:213], -v[93:94]
	v_fma_f64 v[54:55], v[54:55], v[212:213], v[95:96]
	v_fma_f64 v[68:69], v[40:41], v[208:209], -v[97:98]
	v_fma_f64 v[70:71], v[42:43], v[208:209], v[99:100]
	v_add_f64 v[40:41], v[4:5], v[44:45]
	v_add_f64 v[42:43], v[44:45], v[12:13]
	v_add_f64 v[52:53], v[46:47], -v[14:15]
	v_add_f64 v[72:73], v[6:7], v[46:47]
	v_add_f64 v[46:47], v[46:47], v[14:15]
	v_add_f64 v[78:79], v[22:23], -v[18:19]
	v_add_f64 v[80:81], v[10:11], v[22:23]
	v_add_f64 v[22:23], v[22:23], v[18:19]
	;; [unrolled: 1-line block ×3, first 2 shown]
	v_mul_f64 v[101:102], v[58:59], v[214:215]
	v_mul_f64 v[105:106], v[62:63], v[210:211]
	v_fma_f64 v[58:59], v[58:59], v[212:213], v[103:104]
	v_fma_f64 v[62:63], v[62:63], v[208:209], v[107:108]
	v_add_f64 v[44:45], v[44:45], -v[12:13]
	v_add_f64 v[74:75], v[8:9], v[20:21]
	v_add_f64 v[76:77], v[20:21], v[16:17]
	v_add_f64 v[82:83], v[20:21], -v[16:17]
	v_add_f64 v[20:21], v[28:29], v[24:25]
	v_add_f64 v[86:87], v[26:27], -v[38:39]
	v_add_f64 v[91:92], v[30:31], v[26:27]
	v_add_f64 v[26:27], v[26:27], v[38:39]
	v_add_f64 v[93:94], v[24:25], -v[36:37]
	v_add_f64 v[24:25], v[32:33], v[66:67]
	v_add_f64 v[99:100], v[54:55], v[70:71]
	;; [unrolled: 1-line block ×3, first 2 shown]
	v_fma_f64 v[40:41], v[42:43], -0.5, v[4:5]
	v_add_f64 v[14:15], v[72:73], v[14:15]
	v_fma_f64 v[42:43], v[46:47], -0.5, v[6:7]
	v_add_f64 v[6:7], v[80:81], v[18:19]
	v_fma_f64 v[18:19], v[22:23], -0.5, v[10:11]
	v_fma_f64 v[72:73], v[84:85], -0.5, v[28:29]
	v_fma_f64 v[56:57], v[56:57], v[212:213], -v[101:102]
	v_fma_f64 v[60:61], v[60:61], v[208:209], -v[105:106]
	v_add_f64 v[95:96], v[66:67], v[68:69]
	v_add_f64 v[97:98], v[54:55], -v[70:71]
	v_add_f64 v[4:5], v[74:75], v[16:17]
	v_fma_f64 v[46:47], v[76:77], -0.5, v[8:9]
	v_add_f64 v[8:9], v[20:21], v[36:37]
	v_add_f64 v[10:11], v[91:92], v[38:39]
	v_fma_f64 v[74:75], v[26:27], -0.5, v[30:31]
	v_add_f64 v[16:17], v[24:25], v[68:69]
	v_fma_f64 v[20:21], v[52:53], s[2:3], v[40:41]
	v_fma_f64 v[24:25], v[52:53], s[14:15], v[40:41]
	;; [unrolled: 1-line block ×8, first 2 shown]
	v_add_f64 v[18:19], v[58:59], v[62:63]
	v_add_f64 v[54:55], v[34:35], v[54:55]
	v_fma_f64 v[72:73], v[99:100], -0.5, v[34:35]
	v_add_f64 v[66:67], v[66:67], -v[68:69]
	v_add_f64 v[101:102], v[56:57], v[60:61]
	v_fma_f64 v[76:77], v[95:96], -0.5, v[32:33]
	v_mov_b32_e32 v103, v110
	v_fma_f64 v[28:29], v[78:79], s[2:3], v[46:47]
	v_fma_f64 v[36:37], v[78:79], s[14:15], v[46:47]
	v_fma_f64 v[78:79], v[18:19], -0.5, v[50:51]
	v_add_f64 v[18:19], v[54:55], v[70:71]
	v_fma_f64 v[34:35], v[66:67], s[14:15], v[72:73]
	v_fma_f64 v[54:55], v[66:67], s[2:3], v[72:73]
	v_lshrrev_b32_e32 v66, 1, v103
	v_mul_u32_u24_e32 v66, 6, v66
	v_or_b32_e32 v66, v66, v109
	v_lshlrev_b32_e32 v66, 4, v66
	v_fma_f64 v[42:43], v[93:94], s[14:15], v[74:75]
	v_fma_f64 v[46:47], v[93:94], s[2:3], v[74:75]
	;; [unrolled: 1-line block ×4, first 2 shown]
	v_add_f64 v[68:69], v[48:49], v[56:57]
	v_fma_f64 v[74:75], v[101:102], -0.5, v[48:49]
	v_add_f64 v[76:77], v[58:59], -v[62:63]
	v_add_f64 v[58:59], v[50:51], v[58:59]
	v_add_f64 v[80:81], v[56:57], -v[60:61]
	ds_write_b128 v66, v[12:15]
	ds_write_b128 v66, v[20:23] offset:32
	v_lshrrev_b32_e32 v12, 1, v244
	v_mul_u32_u24_e32 v12, 6, v12
	v_or_b32_e32 v12, v12, v109
	v_lshlrev_b32_e32 v12, 4, v12
	buffer_store_dword v66, off, s[40:43], 0 offset:452 ; 4-byte Folded Spill
	ds_write_b128 v66, v[24:27] offset:64
	ds_write_b128 v12, v[4:7]
	ds_write_b128 v12, v[28:31] offset:32
	v_lshrrev_b32_e32 v4, 1, v89
	v_mul_u32_u24_e32 v4, 6, v4
	v_or_b32_e32 v4, v4, v109
	v_lshlrev_b32_e32 v4, 4, v4
	v_add_f64 v[48:49], v[68:69], v[60:61]
	v_fma_f64 v[60:61], v[76:77], s[14:15], v[74:75]
	v_add_f64 v[50:51], v[58:59], v[62:63]
	v_fma_f64 v[62:63], v[80:81], s[2:3], v[78:79]
	buffer_store_dword v12, off, s[40:43], 0 offset:456 ; 4-byte Folded Spill
	ds_write_b128 v12, v[36:39] offset:64
	ds_write_b128 v4, v[8:11]
	ds_write_b128 v4, v[40:43] offset:32
	buffer_store_dword v4, off, s[40:43], 0 offset:460 ; 4-byte Folded Spill
	ds_write_b128 v4, v[44:47] offset:64
	v_lshrrev_b32_e32 v4, 1, v65
	v_fma_f64 v[56:57], v[76:77], s[2:3], v[74:75]
	v_fma_f64 v[58:59], v[80:81], s[14:15], v[78:79]
	v_mul_u32_u24_e32 v4, 6, v4
	v_or_b32_e32 v4, v4, v109
	v_lshlrev_b32_e32 v4, 4, v4
	ds_write_b128 v4, v[16:19]
	ds_write_b128 v4, v[32:35] offset:32
	buffer_store_dword v4, off, s[40:43], 0 offset:464 ; 4-byte Folded Spill
	ds_write_b128 v4, v[52:55] offset:64
	v_lshrrev_b32_e32 v4, 1, v64
	v_mul_u32_u24_e32 v4, 6, v4
	v_or_b32_e32 v4, v4, v109
	v_lshlrev_b32_e32 v4, 4, v4
	ds_write_b128 v4, v[48:51]
	ds_write_b128 v4, v[56:59] offset:32
	buffer_store_dword v4, off, s[40:43], 0 offset:468 ; 4-byte Folded Spill
	ds_write_b128 v4, v[60:63] offset:64
	v_mul_lo_u16_sdwa v4, v103, s16 dst_sel:DWORD dst_unused:UNUSED_PAD src0_sel:BYTE_0 src1_sel:DWORD
	v_lshrrev_b16_e32 v63, 10, v4
	v_mul_lo_u16_e32 v4, 6, v63
	v_sub_u16_e32 v4, v103, v4
	v_and_b32_e32 v82, 0xff, v4
	v_lshlrev_b32_e32 v4, 5, v82
	s_waitcnt vmcnt(0) lgkmcnt(0)
	s_barrier
	global_load_dwordx4 v[168:171], v4, s[4:5] offset:80
	global_load_dwordx4 v[176:179], v4, s[4:5] offset:64
	v_mul_lo_u16_sdwa v4, v244, s16 dst_sel:DWORD dst_unused:UNUSED_PAD src0_sel:BYTE_0 src1_sel:DWORD
	v_lshrrev_b16_e32 v83, 10, v4
	v_mul_lo_u16_e32 v4, 6, v83
	v_sub_u16_e32 v4, v244, v4
	v_and_b32_e32 v84, 0xff, v4
	v_lshlrev_b32_e32 v4, 5, v84
	global_load_dwordx4 v[172:175], v4, s[4:5] offset:80
	global_load_dwordx4 v[184:187], v4, s[4:5] offset:64
	s_mov_b32 s16, 0xaaab
	v_mul_u32_u24_sdwa v4, v89, s16 dst_sel:DWORD dst_unused:UNUSED_PAD src0_sel:WORD_0 src1_sel:DWORD
	v_lshrrev_b32_e32 v85, 18, v4
	v_mul_lo_u16_e32 v4, 6, v85
	v_sub_u16_e32 v86, v89, v4
	v_lshlrev_b16_e32 v5, 5, v86
	v_mov_b32_e32 v4, s5
	v_add_co_u32_e32 v5, vcc, s4, v5
	v_addc_co_u32_e32 v6, vcc, 0, v4, vcc
	global_load_dwordx4 v[180:183], v[5:6], off offset:80
	global_load_dwordx4 v[192:195], v[5:6], off offset:64
	v_mul_u32_u24_sdwa v5, v65, s16 dst_sel:DWORD dst_unused:UNUSED_PAD src0_sel:WORD_0 src1_sel:DWORD
	v_lshrrev_b32_e32 v87, 18, v5
	v_mul_lo_u16_e32 v5, 6, v87
	v_sub_u16_e32 v91, v65, v5
	v_lshlrev_b16_e32 v5, 5, v91
	v_add_co_u32_e32 v5, vcc, s4, v5
	v_addc_co_u32_e32 v6, vcc, 0, v4, vcc
	global_load_dwordx4 v[188:191], v[5:6], off offset:80
	global_load_dwordx4 v[196:199], v[5:6], off offset:64
	v_mul_u32_u24_sdwa v5, v64, s16 dst_sel:DWORD dst_unused:UNUSED_PAD src0_sel:WORD_0 src1_sel:DWORD
	v_lshrrev_b32_e32 v92, 18, v5
	v_mul_lo_u16_e32 v5, 6, v92
	v_sub_u16_e32 v93, v64, v5
	v_lshlrev_b16_e32 v5, 5, v93
	v_add_co_u32_e32 v5, vcc, s4, v5
	v_addc_co_u32_e32 v6, vcc, 0, v4, vcc
	global_load_dwordx4 v[204:207], v[5:6], off offset:64
	global_load_dwordx4 v[200:203], v[5:6], off offset:80
	ds_read_b128 v[5:8], v90 offset:10080
	ds_read_b128 v[9:12], v90
	ds_read_b128 v[13:16], v90 offset:2016
	ds_read_b128 v[17:20], v90 offset:20160
	;; [unrolled: 1-line block ×13, first 2 shown]
	s_waitcnt vmcnt(0) lgkmcnt(0)
	s_barrier
	s_mov_b32 s16, 0xe38f
	v_mul_f64 v[72:73], v[19:20], v[170:171]
	v_mul_f64 v[61:62], v[7:8], v[178:179]
	;; [unrolled: 1-line block ×5, first 2 shown]
	v_fma_f64 v[61:62], v[5:6], v[176:177], -v[61:62]
	v_mul_f64 v[5:6], v[25:26], v[186:187]
	v_fma_f64 v[7:8], v[7:8], v[176:177], v[70:71]
	v_mul_f64 v[70:71], v[23:24], v[174:175]
	v_fma_f64 v[17:18], v[17:18], v[168:169], -v[72:73]
	v_mul_f64 v[72:73], v[21:22], v[174:175]
	v_fma_f64 v[19:20], v[19:20], v[168:169], v[74:75]
	v_fma_f64 v[25:26], v[25:26], v[184:185], -v[76:77]
	v_fma_f64 v[27:28], v[27:28], v[184:185], v[5:6]
	v_mul_f64 v[74:75], v[31:32], v[194:195]
	v_mul_f64 v[5:6], v[29:30], v[194:195]
	v_fma_f64 v[21:22], v[21:22], v[172:173], -v[70:71]
	v_mul_f64 v[70:71], v[43:44], v[182:183]
	v_fma_f64 v[23:24], v[23:24], v[172:173], v[72:73]
	v_mul_f64 v[72:73], v[41:42], v[182:183]
	v_add_f64 v[80:81], v[7:8], -v[19:20]
	v_fma_f64 v[29:30], v[29:30], v[192:193], -v[74:75]
	v_fma_f64 v[31:32], v[31:32], v[192:193], v[5:6]
	v_mul_f64 v[76:77], v[55:56], v[198:199]
	v_mul_f64 v[74:75], v[53:54], v[198:199]
	;; [unrolled: 1-line block ×3, first 2 shown]
	v_fma_f64 v[41:42], v[41:42], v[180:181], -v[70:71]
	v_mul_f64 v[70:71], v[45:46], v[190:191]
	v_fma_f64 v[43:44], v[43:44], v[180:181], v[72:73]
	v_fma_f64 v[72:73], v[53:54], v[196:197], -v[76:77]
	v_mul_f64 v[53:54], v[59:60], v[206:207]
	v_fma_f64 v[55:56], v[55:56], v[196:197], v[74:75]
	v_mul_f64 v[74:75], v[57:58], v[206:207]
	v_fma_f64 v[76:77], v[45:46], v[188:189], -v[5:6]
	v_add_f64 v[5:6], v[61:62], v[17:18]
	v_mul_f64 v[45:46], v[68:69], v[202:203]
	v_fma_f64 v[47:48], v[47:48], v[188:189], v[70:71]
	v_mul_f64 v[70:71], v[66:67], v[202:203]
	v_fma_f64 v[57:58], v[57:58], v[204:205], -v[53:54]
	v_add_f64 v[53:54], v[9:10], v[61:62]
	v_fma_f64 v[59:60], v[59:60], v[204:205], v[74:75]
	v_add_f64 v[74:75], v[7:8], v[19:20]
	v_fma_f64 v[78:79], v[5:6], -0.5, v[9:10]
	v_fma_f64 v[66:67], v[66:67], v[200:201], -v[45:46]
	v_add_f64 v[45:46], v[25:26], v[21:22]
	v_fma_f64 v[68:69], v[68:69], v[200:201], v[70:71]
	v_add_f64 v[7:8], v[11:12], v[7:8]
	v_add_f64 v[5:6], v[53:54], v[17:18]
	v_add_f64 v[61:62], v[61:62], -v[17:18]
	v_fma_f64 v[53:54], v[74:75], -0.5, v[11:12]
	v_fma_f64 v[9:10], v[80:81], s[2:3], v[78:79]
	v_fma_f64 v[17:18], v[80:81], s[14:15], v[78:79]
	v_add_f64 v[70:71], v[13:14], v[25:26]
	v_add_f64 v[74:75], v[27:28], v[23:24]
	v_fma_f64 v[45:46], v[45:46], -0.5, v[13:14]
	v_add_f64 v[78:79], v[27:28], -v[23:24]
	v_add_f64 v[7:8], v[7:8], v[19:20]
	v_fma_f64 v[11:12], v[61:62], s[14:15], v[53:54]
	v_add_f64 v[27:28], v[15:16], v[27:28]
	v_fma_f64 v[19:20], v[61:62], s[2:3], v[53:54]
	v_add_f64 v[13:14], v[70:71], v[21:22]
	v_add_f64 v[53:54], v[29:30], v[41:42]
	v_fma_f64 v[61:62], v[74:75], -0.5, v[15:16]
	v_add_f64 v[70:71], v[25:26], -v[21:22]
	v_fma_f64 v[21:22], v[78:79], s[2:3], v[45:46]
	v_fma_f64 v[25:26], v[78:79], s[14:15], v[45:46]
	v_add_f64 v[45:46], v[31:32], v[43:44]
	v_add_f64 v[15:16], v[27:28], v[23:24]
	;; [unrolled: 1-line block ×3, first 2 shown]
	v_fma_f64 v[53:54], v[53:54], -0.5, v[33:34]
	v_add_f64 v[78:79], v[31:32], -v[43:44]
	v_fma_f64 v[23:24], v[70:71], s[14:15], v[61:62]
	v_add_f64 v[80:81], v[72:73], v[76:77]
	v_fma_f64 v[27:28], v[70:71], s[2:3], v[61:62]
	v_add_f64 v[31:32], v[35:36], v[31:32]
	v_fma_f64 v[45:46], v[45:46], -0.5, v[35:36]
	v_add_f64 v[61:62], v[29:30], -v[41:42]
	v_add_f64 v[70:71], v[37:38], v[72:73]
	v_add_f64 v[29:30], v[74:75], v[41:42]
	v_fma_f64 v[33:34], v[78:79], s[2:3], v[53:54]
	v_fma_f64 v[74:75], v[80:81], -0.5, v[37:38]
	v_add_f64 v[80:81], v[55:56], -v[47:48]
	v_fma_f64 v[41:42], v[78:79], s[14:15], v[53:54]
	v_add_f64 v[31:32], v[31:32], v[43:44]
	v_fma_f64 v[35:36], v[61:62], s[14:15], v[45:46]
	v_add_f64 v[78:79], v[55:56], v[47:48]
	v_fma_f64 v[43:44], v[61:62], s[2:3], v[45:46]
	v_add_f64 v[61:62], v[57:58], v[66:67]
	v_add_f64 v[37:38], v[70:71], v[76:77]
	v_add_f64 v[70:71], v[59:60], v[68:69]
	v_fma_f64 v[45:46], v[80:81], s[2:3], v[74:75]
	v_fma_f64 v[53:54], v[80:81], s[14:15], v[74:75]
	v_add_f64 v[55:56], v[39:40], v[55:56]
	v_fma_f64 v[74:75], v[78:79], -0.5, v[39:40]
	v_add_f64 v[72:73], v[72:73], -v[76:77]
	v_add_f64 v[76:77], v[49:50], v[57:58]
	v_fma_f64 v[61:62], v[61:62], -0.5, v[49:50]
	v_add_f64 v[78:79], v[59:60], -v[68:69]
	;; [unrolled: 3-line block ×3, first 2 shown]
	v_add_f64 v[39:40], v[55:56], v[47:48]
	v_fma_f64 v[55:56], v[72:73], s[2:3], v[74:75]
	v_add_f64 v[49:50], v[76:77], v[66:67]
	v_fma_f64 v[47:48], v[72:73], s[14:15], v[74:75]
	v_fma_f64 v[57:58], v[78:79], s[2:3], v[61:62]
	;; [unrolled: 1-line block ×3, first 2 shown]
	v_mul_u32_u24_e32 v61, 18, v63
	v_add_lshl_u32 v61, v61, v82, 4
	v_add_f64 v[51:52], v[59:60], v[68:69]
	v_fma_f64 v[68:69], v[80:81], s[2:3], v[70:71]
	ds_write_b128 v61, v[5:8]
	ds_write_b128 v61, v[9:12] offset:96
	v_mul_u32_u24_e32 v5, 18, v83
	v_fma_f64 v[59:60], v[80:81], s[14:15], v[70:71]
	v_add_lshl_u32 v5, v5, v84, 4
	buffer_store_dword v61, off, s[40:43], 0 offset:432 ; 4-byte Folded Spill
	ds_write_b128 v61, v[17:20] offset:192
	ds_write_b128 v5, v[13:16]
	ds_write_b128 v5, v[21:24] offset:96
	buffer_store_dword v5, off, s[40:43], 0 offset:436 ; 4-byte Folded Spill
	ds_write_b128 v5, v[25:28] offset:192
	v_mad_legacy_u16 v5, v85, 18, v86
	v_lshlrev_b32_e32 v5, 4, v5
	ds_write_b128 v5, v[29:32]
	ds_write_b128 v5, v[33:36] offset:96
	buffer_store_dword v5, off, s[40:43], 0 offset:440 ; 4-byte Folded Spill
	ds_write_b128 v5, v[41:44] offset:192
	v_mad_legacy_u16 v5, v87, 18, v91
	v_lshlrev_b32_e32 v5, 4, v5
	;; [unrolled: 6-line block ×3, first 2 shown]
	ds_write_b128 v5, v[49:52]
	ds_write_b128 v5, v[57:60] offset:96
	buffer_store_dword v5, off, s[40:43], 0 offset:448 ; 4-byte Folded Spill
	ds_write_b128 v5, v[66:69] offset:192
	v_mov_b32_e32 v5, 57
	v_mul_lo_u16_sdwa v6, v103, v5 dst_sel:DWORD dst_unused:UNUSED_PAD src0_sel:BYTE_0 src1_sel:DWORD
	v_lshrrev_b16_e32 v80, 10, v6
	v_mul_lo_u16_e32 v6, 18, v80
	v_sub_u16_e32 v6, v103, v6
	v_and_b32_e32 v81, 0xff, v6
	v_mul_lo_u16_sdwa v5, v244, v5 dst_sel:DWORD dst_unused:UNUSED_PAD src0_sel:BYTE_0 src1_sel:DWORD
	v_lshlrev_b32_e32 v6, 5, v81
	v_lshrrev_b16_e32 v82, 10, v5
	s_waitcnt vmcnt(0) lgkmcnt(0)
	s_barrier
	global_load_dwordx4 v[128:131], v6, s[4:5] offset:272
	global_load_dwordx4 v[136:139], v6, s[4:5] offset:256
	v_mul_lo_u16_e32 v5, 18, v82
	v_sub_u16_e32 v5, v244, v5
	v_and_b32_e32 v83, 0xff, v5
	v_lshlrev_b32_e32 v5, 5, v83
	global_load_dwordx4 v[132:135], v5, s[4:5] offset:272
	global_load_dwordx4 v[144:147], v5, s[4:5] offset:256
	v_mul_u32_u24_sdwa v5, v89, s16 dst_sel:DWORD dst_unused:UNUSED_PAD src0_sel:WORD_0 src1_sel:DWORD
	v_lshrrev_b32_e32 v84, 20, v5
	v_mul_lo_u16_e32 v5, 18, v84
	v_sub_u16_e32 v85, v89, v5
	v_lshlrev_b16_e32 v5, 5, v85
	v_add_co_u32_e32 v5, vcc, s4, v5
	v_addc_co_u32_e32 v6, vcc, 0, v4, vcc
	global_load_dwordx4 v[140:143], v[5:6], off offset:272
	global_load_dwordx4 v[152:155], v[5:6], off offset:256
	v_mul_u32_u24_sdwa v5, v65, s16 dst_sel:DWORD dst_unused:UNUSED_PAD src0_sel:WORD_0 src1_sel:DWORD
	v_lshrrev_b32_e32 v86, 20, v5
	v_mul_lo_u16_e32 v5, 18, v86
	v_sub_u16_e32 v87, v65, v5
	v_lshlrev_b16_e32 v5, 5, v87
	v_add_co_u32_e32 v5, vcc, s4, v5
	v_addc_co_u32_e32 v6, vcc, 0, v4, vcc
	global_load_dwordx4 v[148:151], v[5:6], off offset:272
	global_load_dwordx4 v[156:159], v[5:6], off offset:256
	;; [unrolled: 9-line block ×3, first 2 shown]
	ds_read_b128 v[4:7], v90 offset:10080
	ds_read_b128 v[8:11], v90
	ds_read_b128 v[12:15], v90 offset:2016
	ds_read_b128 v[16:19], v90 offset:20160
	;; [unrolled: 1-line block ×13, first 2 shown]
	s_waitcnt vmcnt(0) lgkmcnt(0)
	s_barrier
	v_mul_f64 v[68:69], v[18:19], v[130:131]
	v_mul_f64 v[64:65], v[6:7], v[138:139]
	;; [unrolled: 1-line block ×5, first 2 shown]
	v_fma_f64 v[16:17], v[16:17], v[128:129], -v[68:69]
	v_fma_f64 v[4:5], v[4:5], v[136:137], -v[64:65]
	v_mul_f64 v[64:65], v[24:25], v[146:147]
	v_mul_f64 v[68:69], v[20:21], v[134:135]
	v_fma_f64 v[6:7], v[6:7], v[136:137], v[66:67]
	v_mul_f64 v[66:67], v[22:23], v[134:135]
	v_fma_f64 v[18:19], v[18:19], v[128:129], v[70:71]
	v_fma_f64 v[24:25], v[24:25], v[144:145], -v[72:73]
	v_mul_f64 v[70:71], v[30:31], v[154:155]
	v_fma_f64 v[26:27], v[26:27], v[144:145], v[64:65]
	v_mul_f64 v[64:65], v[28:29], v[154:155]
	v_fma_f64 v[68:69], v[22:23], v[132:133], v[68:69]
	v_mul_f64 v[22:23], v[40:41], v[142:143]
	v_fma_f64 v[66:67], v[20:21], v[132:133], -v[66:67]
	v_mul_f64 v[20:21], v[42:43], v[142:143]
	v_fma_f64 v[70:71], v[28:29], v[152:153], -v[70:71]
	v_mul_f64 v[28:29], v[52:53], v[158:159]
	v_fma_f64 v[64:65], v[30:31], v[152:153], v[64:65]
	v_mul_f64 v[30:31], v[46:47], v[150:151]
	v_fma_f64 v[42:43], v[42:43], v[140:141], v[22:23]
	v_mul_f64 v[72:73], v[54:55], v[158:159]
	v_fma_f64 v[40:41], v[40:41], v[140:141], -v[20:21]
	v_mul_f64 v[20:21], v[44:45], v[150:151]
	v_fma_f64 v[54:55], v[54:55], v[156:157], v[28:29]
	v_mul_f64 v[22:23], v[58:59], v[166:167]
	v_mul_f64 v[28:29], v[56:57], v[166:167]
	v_fma_f64 v[74:75], v[44:45], v[148:149], -v[30:31]
	v_add_f64 v[30:31], v[4:5], v[16:17]
	v_mul_f64 v[44:45], v[60:61], v[162:163]
	v_fma_f64 v[76:77], v[46:47], v[148:149], v[20:21]
	v_mul_f64 v[20:21], v[62:63], v[162:163]
	v_add_f64 v[46:47], v[6:7], -v[18:19]
	v_fma_f64 v[78:79], v[56:57], v[164:165], -v[22:23]
	v_add_f64 v[22:23], v[8:9], v[4:5]
	v_fma_f64 v[58:59], v[58:59], v[164:165], v[28:29]
	v_add_f64 v[28:29], v[6:7], v[18:19]
	v_fma_f64 v[30:31], v[30:31], -0.5, v[8:9]
	v_add_f64 v[6:7], v[10:11], v[6:7]
	v_fma_f64 v[60:61], v[60:61], v[160:161], -v[20:21]
	v_fma_f64 v[62:63], v[62:63], v[160:161], v[44:45]
	v_add_f64 v[4:5], v[4:5], -v[16:17]
	v_add_f64 v[8:9], v[22:23], v[16:17]
	v_add_f64 v[22:23], v[24:25], v[66:67]
	v_fma_f64 v[28:29], v[28:29], -0.5, v[10:11]
	v_fma_f64 v[16:17], v[46:47], s[2:3], v[30:31]
	v_fma_f64 v[20:21], v[46:47], s[14:15], v[30:31]
	v_add_f64 v[30:31], v[12:13], v[24:25]
	v_add_f64 v[10:11], v[6:7], v[18:19]
	;; [unrolled: 1-line block ×3, first 2 shown]
	v_add_f64 v[46:47], v[26:27], -v[68:69]
	v_fma_f64 v[44:45], v[22:23], -0.5, v[12:13]
	v_fma_f64 v[72:73], v[52:53], v[156:157], -v[72:73]
	v_fma_f64 v[18:19], v[4:5], s[14:15], v[28:29]
	v_add_f64 v[26:27], v[14:15], v[26:27]
	v_fma_f64 v[22:23], v[4:5], s[2:3], v[28:29]
	v_add_f64 v[12:13], v[30:31], v[66:67]
	v_add_f64 v[4:5], v[70:71], v[40:41]
	v_fma_f64 v[6:7], v[6:7], -0.5, v[14:15]
	v_add_f64 v[30:31], v[24:25], -v[66:67]
	v_fma_f64 v[24:25], v[46:47], s[2:3], v[44:45]
	v_fma_f64 v[28:29], v[46:47], s[14:15], v[44:45]
	v_add_f64 v[44:45], v[64:65], v[42:43]
	v_add_f64 v[14:15], v[26:27], v[68:69]
	;; [unrolled: 1-line block ×3, first 2 shown]
	v_fma_f64 v[4:5], v[4:5], -0.5, v[32:33]
	v_add_f64 v[52:53], v[64:65], -v[42:43]
	v_fma_f64 v[26:27], v[30:31], s[14:15], v[6:7]
	v_add_f64 v[56:57], v[72:73], v[74:75]
	v_fma_f64 v[30:31], v[30:31], s[2:3], v[6:7]
	v_add_f64 v[6:7], v[34:35], v[64:65]
	v_fma_f64 v[64:65], v[44:45], -0.5, v[34:35]
	v_add_f64 v[66:67], v[70:71], -v[40:41]
	v_add_f64 v[32:33], v[46:47], v[40:41]
	v_fma_f64 v[40:41], v[52:53], s[2:3], v[4:5]
	v_add_f64 v[68:69], v[36:37], v[72:73]
	v_fma_f64 v[56:57], v[56:57], -0.5, v[36:37]
	v_add_f64 v[70:71], v[54:55], -v[76:77]
	v_fma_f64 v[44:45], v[52:53], s[14:15], v[4:5]
	v_add_f64 v[34:35], v[6:7], v[42:43]
	v_fma_f64 v[42:43], v[66:67], s[14:15], v[64:65]
	v_add_f64 v[4:5], v[54:55], v[76:77]
	;; [unrolled: 2-line block ×3, first 2 shown]
	v_add_f64 v[64:65], v[58:59], v[62:63]
	v_add_f64 v[36:37], v[68:69], v[74:75]
	v_fma_f64 v[52:53], v[70:71], s[2:3], v[56:57]
	v_fma_f64 v[56:57], v[70:71], s[14:15], v[56:57]
	v_add_f64 v[54:55], v[38:39], v[54:55]
	v_fma_f64 v[4:5], v[4:5], -0.5, v[38:39]
	v_add_f64 v[66:67], v[72:73], -v[74:75]
	v_add_f64 v[68:69], v[48:49], v[78:79]
	v_fma_f64 v[6:7], v[6:7], -0.5, v[48:49]
	v_add_f64 v[70:71], v[58:59], -v[62:63]
	;; [unrolled: 3-line block ×3, first 2 shown]
	v_add_f64 v[38:39], v[54:55], v[76:77]
	v_fma_f64 v[54:55], v[66:67], s[14:15], v[4:5]
	v_fma_f64 v[58:59], v[66:67], s[2:3], v[4:5]
	v_add_f64 v[48:49], v[68:69], v[60:61]
	v_fma_f64 v[60:61], v[70:71], s[2:3], v[6:7]
	v_fma_f64 v[4:5], v[70:71], s[14:15], v[6:7]
	;; [unrolled: 3-line block ×3, first 2 shown]
	v_mul_u32_u24_e32 v64, 54, v80
	v_add_lshl_u32 v64, v64, v81, 4
	ds_write_b128 v64, v[8:11]
	ds_write_b128 v64, v[16:19] offset:288
	v_mul_u32_u24_e32 v8, 54, v82
	v_add_lshl_u32 v8, v8, v83, 4
	buffer_store_dword v64, off, s[40:43], 0 offset:412 ; 4-byte Folded Spill
	ds_write_b128 v64, v[20:23] offset:576
	ds_write_b128 v8, v[12:15]
	ds_write_b128 v8, v[24:27] offset:288
	buffer_store_dword v8, off, s[40:43], 0 offset:416 ; 4-byte Folded Spill
	ds_write_b128 v8, v[28:31] offset:576
	v_mad_legacy_u16 v8, v84, 54, v85
	v_lshlrev_b32_e32 v8, 4, v8
	ds_write_b128 v8, v[32:35]
	ds_write_b128 v8, v[40:43] offset:288
	buffer_store_dword v8, off, s[40:43], 0 offset:420 ; 4-byte Folded Spill
	ds_write_b128 v8, v[44:47] offset:576
	v_mad_legacy_u16 v8, v86, 54, v87
	v_lshlrev_b32_e32 v8, 4, v8
	;; [unrolled: 6-line block ×3, first 2 shown]
	ds_write_b128 v8, v[48:51]
	ds_write_b128 v8, v[60:63] offset:288
	buffer_store_dword v8, off, s[40:43], 0 offset:428 ; 4-byte Folded Spill
	ds_write_b128 v8, v[4:7] offset:576
	s_waitcnt vmcnt(0) lgkmcnt(0)
	s_barrier
	ds_read_b128 v[12:15], v90
	ds_read_b128 v[8:11], v90 offset:2016
	ds_read_b128 v[80:83], v90 offset:4320
	;; [unrolled: 1-line block ×13, first 2 shown]
	v_cmp_gt_u16_e64 s[2:3], 18, v103
                                        ; implicit-def: $vgpr24_vgpr25
                                        ; implicit-def: $vgpr28_vgpr29
                                        ; implicit-def: $vgpr32_vgpr33
                                        ; implicit-def: $vgpr16_vgpr17
                                        ; implicit-def: $vgpr20_vgpr21
	s_and_saveexec_b64 s[14:15], s[2:3]
	s_cbranch_execz .LBB0_9
; %bb.8:
	ds_read_b128 v[4:7], v90 offset:4032
	ds_read_b128 v[0:3], v90 offset:8352
	;; [unrolled: 1-line block ×7, first 2 shown]
.LBB0_9:
	s_or_b64 exec, exec, s[14:15]
	v_mov_b32_e32 v85, 19
	v_mul_lo_u16_sdwa v84, v103, v85 dst_sel:DWORD dst_unused:UNUSED_PAD src0_sel:BYTE_0 src1_sel:DWORD
	v_lshrrev_b16_e32 v84, 10, v84
	v_mul_lo_u16_e32 v86, 54, v84
	v_sub_u16_e32 v86, v103, v86
	v_mov_b32_e32 v92, s5
	v_and_b32_e32 v86, 0xff, v86
	s_movk_i32 s16, 0x60
	v_mov_b32_e32 v91, s4
	v_mad_u64_u32 v[93:94], s[14:15], v86, s16, v[91:92]
	global_load_dwordx4 v[97:100], v[93:94], off offset:880
	global_load_dwordx4 v[112:115], v[93:94], off offset:864
	;; [unrolled: 1-line block ×4, first 2 shown]
	s_mov_b32 s22, 0xe976ee23
	s_mov_b32 s23, 0xbfe11646
	s_mov_b32 s18, 0x37e14327
	s_mov_b32 s20, 0x429ad128
	s_mov_b32 s24, 0xaaaaaaaa
	s_mov_b32 s26, 0x5476071b
	s_mov_b32 s19, 0x3fe948f6
	s_mov_b32 s21, 0x3febfeb5
	s_mov_b32 s25, 0xbff2aaaa
	s_mov_b32 s27, 0x3fe77f67
	s_mov_b32 s28, 0x37c3f68c
	s_mov_b32 s29, 0x3fdc38aa
	s_mov_b32 s34, 0xb247c609
	s_mov_b32 s31, 0xbfe77f67
	s_mov_b32 s30, s26
	s_mov_b32 s35, 0x3fd5d0dc
	s_mov_b32 s37, 0xbfd5d0dc
	s_mov_b32 s36, s34
	s_waitcnt vmcnt(0) lgkmcnt(11)
	v_mul_f64 v[95:96], v[82:83], v[126:127]
	v_fma_f64 v[216:217], v[80:81], v[124:125], -v[95:96]
	v_mul_f64 v[80:81], v[80:81], v[126:127]
	v_fma_f64 v[82:83], v[82:83], v[124:125], v[80:81]
	s_waitcnt lgkmcnt(9)
	v_mul_f64 v[80:81], v[78:79], v[122:123]
	v_fma_f64 v[80:81], v[76:77], v[120:121], -v[80:81]
	v_mul_f64 v[76:77], v[76:77], v[122:123]
	v_fma_f64 v[78:79], v[78:79], v[120:121], v[76:77]
	s_waitcnt lgkmcnt(7)
	;; [unrolled: 5-line block ×3, first 2 shown]
	v_mul_f64 v[74:75], v[70:71], v[99:100]
	v_fma_f64 v[74:75], v[68:69], v[97:98], -v[74:75]
	v_mul_f64 v[68:69], v[68:69], v[99:100]
	buffer_store_dword v97, off, s[40:43], 0 offset:396 ; 4-byte Folded Spill
	s_nop 0
	buffer_store_dword v98, off, s[40:43], 0 offset:400 ; 4-byte Folded Spill
	buffer_store_dword v99, off, s[40:43], 0 offset:404 ; 4-byte Folded Spill
	;; [unrolled: 1-line block ×3, first 2 shown]
	global_load_dwordx4 v[108:111], v[93:94], off offset:912
	global_load_dwordx4 v[116:119], v[93:94], off offset:896
	v_fma_f64 v[68:69], v[70:71], v[97:98], v[68:69]
	s_waitcnt vmcnt(0) lgkmcnt(3)
	v_mul_f64 v[70:71], v[66:67], v[118:119]
	v_fma_f64 v[70:71], v[64:65], v[116:117], -v[70:71]
	v_mul_f64 v[64:65], v[64:65], v[118:119]
	v_fma_f64 v[64:65], v[66:67], v[116:117], v[64:65]
	s_waitcnt lgkmcnt(1)
	v_mul_f64 v[66:67], v[62:63], v[110:111]
	v_fma_f64 v[66:67], v[60:61], v[108:109], -v[66:67]
	v_mul_f64 v[60:61], v[60:61], v[110:111]
	v_fma_f64 v[218:219], v[62:63], v[108:109], v[60:61]
	v_mul_lo_u16_sdwa v60, v244, v85 dst_sel:DWORD dst_unused:UNUSED_PAD src0_sel:BYTE_0 src1_sel:DWORD
	v_lshrrev_b16_e32 v85, 10, v60
	v_mul_lo_u16_e32 v60, 54, v85
	v_sub_u16_e32 v60, v244, v60
	v_and_b32_e32 v87, 0xff, v60
	v_mad_u64_u32 v[62:63], s[14:15], v87, s16, v[91:92]
	global_load_dwordx4 v[91:94], v[62:63], off offset:880
	global_load_dwordx4 v[95:98], v[62:63], off offset:864
	;; [unrolled: 1-line block ×4, first 2 shown]
	s_mov_b32 s14, 0x36b3c0b5
	s_mov_b32 s15, 0x3fac98ee
	s_waitcnt vmcnt(0)
	v_mul_f64 v[60:61], v[58:59], v[106:107]
	v_fma_f64 v[60:61], v[56:57], v[104:105], -v[60:61]
	v_mul_f64 v[56:57], v[56:57], v[106:107]
	v_fma_f64 v[58:59], v[58:59], v[104:105], v[56:57]
	v_mul_f64 v[56:57], v[54:55], v[101:102]
	v_fma_f64 v[56:57], v[52:53], v[99:100], -v[56:57]
	v_mul_f64 v[52:53], v[52:53], v[101:102]
	buffer_store_dword v99, off, s[40:43], 0 offset:380 ; 4-byte Folded Spill
	s_nop 0
	buffer_store_dword v100, off, s[40:43], 0 offset:384 ; 4-byte Folded Spill
	buffer_store_dword v101, off, s[40:43], 0 offset:388 ; 4-byte Folded Spill
	buffer_store_dword v102, off, s[40:43], 0 offset:392 ; 4-byte Folded Spill
	v_fma_f64 v[54:55], v[54:55], v[99:100], v[52:53]
	v_mul_f64 v[52:53], v[50:51], v[97:98]
	v_fma_f64 v[52:53], v[48:49], v[95:96], -v[52:53]
	v_mul_f64 v[48:49], v[48:49], v[97:98]
	buffer_store_dword v95, off, s[40:43], 0 offset:364 ; 4-byte Folded Spill
	s_nop 0
	buffer_store_dword v96, off, s[40:43], 0 offset:368 ; 4-byte Folded Spill
	buffer_store_dword v97, off, s[40:43], 0 offset:372 ; 4-byte Folded Spill
	buffer_store_dword v98, off, s[40:43], 0 offset:376 ; 4-byte Folded Spill
	;; [unrolled: 9-line block ×3, first 2 shown]
	v_fma_f64 v[44:45], v[46:47], v[91:92], v[44:45]
	global_load_dwordx4 v[91:94], v[62:63], off offset:912
	global_load_dwordx4 v[95:98], v[62:63], off offset:896
	s_waitcnt vmcnt(0)
	v_mul_f64 v[46:47], v[42:43], v[97:98]
	v_fma_f64 v[46:47], v[40:41], v[95:96], -v[46:47]
	v_mul_f64 v[40:41], v[40:41], v[97:98]
	buffer_store_dword v95, off, s[40:43], 0 offset:332 ; 4-byte Folded Spill
	s_nop 0
	buffer_store_dword v96, off, s[40:43], 0 offset:336 ; 4-byte Folded Spill
	buffer_store_dword v97, off, s[40:43], 0 offset:340 ; 4-byte Folded Spill
	;; [unrolled: 1-line block ×3, first 2 shown]
	v_fma_f64 v[40:41], v[42:43], v[95:96], v[40:41]
	s_waitcnt lgkmcnt(0)
	v_mul_f64 v[42:43], v[38:39], v[93:94]
	v_fma_f64 v[42:43], v[36:37], v[91:92], -v[42:43]
	v_mul_f64 v[36:37], v[36:37], v[93:94]
	buffer_store_dword v91, off, s[40:43], 0 offset:316 ; 4-byte Folded Spill
	s_nop 0
	buffer_store_dword v92, off, s[40:43], 0 offset:320 ; 4-byte Folded Spill
	buffer_store_dword v93, off, s[40:43], 0 offset:324 ; 4-byte Folded Spill
	;; [unrolled: 1-line block ×3, first 2 shown]
	v_fma_f64 v[36:37], v[38:39], v[91:92], v[36:37]
	v_lshrrev_b16_e32 v38, 1, v89
	v_mul_u32_u24_e32 v38, 0x97b5, v38
	v_lshrrev_b32_e32 v38, 20, v38
	v_mul_lo_u16_e32 v38, 54, v38
	v_sub_u16_e32 v91, v89, v38
	v_mul_lo_u16_e32 v38, 0x60, v91
	v_add_co_u32_e32 v92, vcc, s4, v38
	v_mov_b32_e32 v38, s5
	v_addc_co_u32_e32 v93, vcc, 0, v38, vcc
	global_load_dwordx4 v[94:97], v[92:93], off offset:880
	global_load_dwordx4 v[98:101], v[92:93], off offset:864
	;; [unrolled: 1-line block ×4, first 2 shown]
	s_waitcnt vmcnt(0)
	v_mul_f64 v[38:39], v[2:3], v[226:227]
	v_fma_f64 v[38:39], v[0:1], v[224:225], -v[38:39]
	v_mul_f64 v[0:1], v[0:1], v[226:227]
	buffer_store_dword v224, off, s[40:43], 0 offset:560 ; 4-byte Folded Spill
	s_nop 0
	buffer_store_dword v225, off, s[40:43], 0 offset:564 ; 4-byte Folded Spill
	buffer_store_dword v226, off, s[40:43], 0 offset:568 ; 4-byte Folded Spill
	;; [unrolled: 1-line block ×3, first 2 shown]
	v_fma_f64 v[62:63], v[2:3], v[224:225], v[0:1]
	v_mul_f64 v[0:1], v[26:27], v[222:223]
	v_mul_f64 v[2:3], v[24:25], v[222:223]
	v_fma_f64 v[0:1], v[24:25], v[220:221], -v[0:1]
	buffer_store_dword v220, off, s[40:43], 0 offset:544 ; 4-byte Folded Spill
	s_nop 0
	buffer_store_dword v221, off, s[40:43], 0 offset:548 ; 4-byte Folded Spill
	buffer_store_dword v222, off, s[40:43], 0 offset:552 ; 4-byte Folded Spill
	;; [unrolled: 1-line block ×3, first 2 shown]
	v_fma_f64 v[24:25], v[26:27], v[220:221], v[2:3]
	v_mul_f64 v[2:3], v[30:31], v[100:101]
	v_mul_f64 v[26:27], v[28:29], v[100:101]
	v_fma_f64 v[2:3], v[28:29], v[98:99], -v[2:3]
	buffer_store_dword v98, off, s[40:43], 0 offset:528 ; 4-byte Folded Spill
	s_nop 0
	buffer_store_dword v99, off, s[40:43], 0 offset:532 ; 4-byte Folded Spill
	buffer_store_dword v100, off, s[40:43], 0 offset:536 ; 4-byte Folded Spill
	;; [unrolled: 1-line block ×3, first 2 shown]
	v_mul_f64 v[28:29], v[34:35], v[96:97]
	v_fma_f64 v[28:29], v[32:33], v[94:95], -v[28:29]
	v_fma_f64 v[26:27], v[30:31], v[98:99], v[26:27]
	v_mul_f64 v[30:31], v[32:33], v[96:97]
	buffer_store_dword v94, off, s[40:43], 0 offset:512 ; 4-byte Folded Spill
	s_nop 0
	buffer_store_dword v95, off, s[40:43], 0 offset:516 ; 4-byte Folded Spill
	buffer_store_dword v96, off, s[40:43], 0 offset:520 ; 4-byte Folded Spill
	;; [unrolled: 1-line block ×3, first 2 shown]
	global_load_dwordx4 v[96:99], v[92:93], off offset:912
	s_nop 0
	global_load_dwordx4 v[220:223], v[92:93], off offset:896
	v_fma_f64 v[30:31], v[34:35], v[94:95], v[30:31]
	v_add_f64 v[34:35], v[78:79], v[64:65]
	v_add_f64 v[64:65], v[78:79], -v[64:65]
	v_add_f64 v[78:79], v[72:73], v[68:69]
	s_waitcnt vmcnt(0)
	v_mul_f64 v[32:33], v[18:19], v[222:223]
	v_add_f64 v[68:69], v[68:69], -v[72:73]
	v_fma_f64 v[92:93], v[16:17], v[220:221], -v[32:33]
	v_mul_f64 v[16:17], v[16:17], v[222:223]
	buffer_store_dword v220, off, s[40:43], 0 offset:592 ; 4-byte Folded Spill
	s_nop 0
	buffer_store_dword v221, off, s[40:43], 0 offset:596 ; 4-byte Folded Spill
	buffer_store_dword v222, off, s[40:43], 0 offset:600 ; 4-byte Folded Spill
	;; [unrolled: 1-line block ×3, first 2 shown]
	v_add_f64 v[32:33], v[80:81], v[70:71]
	v_add_f64 v[226:227], v[68:69], -v[64:65]
	v_fma_f64 v[94:95], v[18:19], v[220:221], v[16:17]
	v_mul_f64 v[16:17], v[22:23], v[98:99]
	v_add_f64 v[18:19], v[82:83], v[218:219]
	v_fma_f64 v[220:221], v[20:21], v[96:97], -v[16:17]
	v_mul_f64 v[16:17], v[20:21], v[98:99]
	buffer_store_dword v96, off, s[40:43], 0 offset:576 ; 4-byte Folded Spill
	s_nop 0
	buffer_store_dword v97, off, s[40:43], 0 offset:580 ; 4-byte Folded Spill
	buffer_store_dword v98, off, s[40:43], 0 offset:584 ; 4-byte Folded Spill
	;; [unrolled: 1-line block ×3, first 2 shown]
	v_add_f64 v[20:21], v[216:217], -v[66:67]
	v_fma_f64 v[222:223], v[22:23], v[96:97], v[16:17]
	v_add_f64 v[16:17], v[216:217], v[66:67]
	v_add_f64 v[66:67], v[80:81], -v[70:71]
	v_add_f64 v[70:71], v[76:77], v[74:75]
	v_add_f64 v[74:75], v[74:75], -v[76:77]
	;; [unrolled: 2-line block ×3, first 2 shown]
	v_add_f64 v[82:83], v[34:35], -v[18:19]
	v_add_f64 v[34:35], v[78:79], -v[34:35]
	v_add_f64 v[72:73], v[32:33], v[16:17]
	v_add_f64 v[80:81], v[32:33], -v[16:17]
	v_add_f64 v[16:17], v[16:17], -v[70:71]
	;; [unrolled: 1-line block ×3, first 2 shown]
	v_add_f64 v[216:217], v[74:75], v[66:67]
	v_add_f64 v[218:219], v[68:69], v[64:65]
	v_add_f64 v[224:225], v[74:75], -v[66:67]
	v_add_f64 v[18:19], v[18:19], -v[78:79]
	v_add_f64 v[70:71], v[70:71], v[72:73]
	v_add_f64 v[72:73], v[78:79], v[76:77]
	v_add_f64 v[74:75], v[20:21], -v[74:75]
	v_add_f64 v[68:69], v[22:23], -v[68:69]
	;; [unrolled: 1-line block ×4, first 2 shown]
	v_add_f64 v[20:21], v[216:217], v[20:21]
	v_add_f64 v[22:23], v[218:219], v[22:23]
	;; [unrolled: 1-line block ×4, first 2 shown]
	v_mul_f64 v[76:77], v[32:33], s[14:15]
	v_mul_f64 v[78:79], v[34:35], s[14:15]
	;; [unrolled: 1-line block ×8, first 2 shown]
	v_fma_f64 v[70:71], v[70:71], s[24:25], v[12:13]
	v_fma_f64 v[72:73], v[72:73], s[24:25], v[14:15]
	v_fma_f64 v[76:77], v[80:81], s[26:27], -v[76:77]
	v_fma_f64 v[78:79], v[82:83], s[26:27], -v[78:79]
	;; [unrolled: 1-line block ×4, first 2 shown]
	v_fma_f64 v[32:33], v[32:33], s[14:15], v[16:17]
	v_fma_f64 v[34:35], v[34:35], s[14:15], v[18:19]
	v_fma_f64 v[16:17], v[80:81], s[30:31], -v[16:17]
	v_fma_f64 v[18:19], v[82:83], s[30:31], -v[18:19]
	v_add_f64 v[76:77], v[76:77], v[70:71]
	v_add_f64 v[78:79], v[78:79], v[72:73]
	v_fma_f64 v[66:67], v[20:21], s[28:29], v[66:67]
	v_fma_f64 v[64:65], v[22:23], s[28:29], v[64:65]
	;; [unrolled: 1-line block ×4, first 2 shown]
	v_fma_f64 v[74:75], v[74:75], s[36:37], -v[224:225]
	v_fma_f64 v[68:69], v[68:69], s[36:37], -v[226:227]
	v_add_f64 v[216:217], v[32:33], v[70:71]
	v_add_f64 v[218:219], v[34:35], v[72:73]
	;; [unrolled: 1-line block ×3, first 2 shown]
	v_add_f64 v[32:33], v[76:77], -v[64:65]
	v_add_f64 v[64:65], v[64:65], v[76:77]
	v_add_f64 v[66:67], v[78:79], -v[66:67]
	v_add_f64 v[76:77], v[60:61], v[42:43]
	v_add_f64 v[78:79], v[58:59], v[36:37]
	v_add_f64 v[42:43], v[60:61], -v[42:43]
	v_add_f64 v[36:37], v[58:59], -v[36:37]
	v_add_f64 v[58:59], v[56:57], v[46:47]
	v_add_f64 v[60:61], v[54:55], v[40:41]
	;; [unrolled: 1-line block ×4, first 2 shown]
	v_fma_f64 v[80:81], v[20:21], s[28:29], v[80:81]
	v_fma_f64 v[82:83], v[22:23], s[28:29], v[82:83]
	;; [unrolled: 1-line block ×4, first 2 shown]
	v_add_f64 v[46:47], v[56:57], -v[46:47]
	v_add_f64 v[40:41], v[54:55], -v[40:41]
	v_add_f64 v[54:55], v[52:53], v[50:51]
	v_add_f64 v[56:57], v[48:49], v[44:45]
	v_add_f64 v[50:51], v[50:51], -v[52:53]
	v_add_f64 v[44:45], v[44:45], -v[48:49]
	v_add_f64 v[48:49], v[58:59], v[76:77]
	v_add_f64 v[52:53], v[60:61], v[78:79]
	;; [unrolled: 1-line block ×3, first 2 shown]
	v_add_f64 v[18:19], v[218:219], -v[80:81]
	v_add_f64 v[20:21], v[68:69], v[70:71]
	v_add_f64 v[22:23], v[72:73], -v[74:75]
	v_add_f64 v[68:69], v[70:71], -v[68:69]
	v_add_f64 v[70:71], v[74:75], v[72:73]
	v_add_f64 v[72:73], v[216:217], -v[82:83]
	v_add_f64 v[74:75], v[80:81], v[218:219]
	v_add_f64 v[80:81], v[58:59], -v[76:77]
	v_add_f64 v[82:83], v[60:61], -v[78:79]
	;; [unrolled: 1-line block ×6, first 2 shown]
	v_add_f64 v[216:217], v[50:51], v[46:47]
	v_add_f64 v[218:219], v[44:45], v[40:41]
	v_add_f64 v[224:225], v[50:51], -v[46:47]
	v_add_f64 v[226:227], v[44:45], -v[40:41]
	;; [unrolled: 1-line block ×3, first 2 shown]
	v_add_f64 v[48:49], v[54:55], v[48:49]
	v_add_f64 v[52:53], v[56:57], v[52:53]
	v_add_f64 v[50:51], v[42:43], -v[50:51]
	v_add_f64 v[44:45], v[36:37], -v[44:45]
	;; [unrolled: 1-line block ×3, first 2 shown]
	v_add_f64 v[42:43], v[216:217], v[42:43]
	v_add_f64 v[36:37], v[218:219], v[36:37]
	v_mul_f64 v[54:55], v[76:77], s[18:19]
	v_add_f64 v[8:9], v[8:9], v[48:49]
	v_add_f64 v[10:11], v[10:11], v[52:53]
	v_mul_f64 v[56:57], v[78:79], s[18:19]
	v_mul_f64 v[76:77], v[58:59], s[14:15]
	v_mul_f64 v[78:79], v[60:61], s[14:15]
	v_mul_f64 v[216:217], v[224:225], s[22:23]
	v_mul_f64 v[218:219], v[226:227], s[22:23]
	v_mul_f64 v[226:227], v[40:41], s[20:21]
	v_mul_f64 v[224:225], v[46:47], s[20:21]
	v_fma_f64 v[48:49], v[48:49], s[24:25], v[8:9]
	v_fma_f64 v[52:53], v[52:53], s[24:25], v[10:11]
	;; [unrolled: 1-line block ×4, first 2 shown]
	v_fma_f64 v[76:77], v[80:81], s[26:27], -v[76:77]
	v_fma_f64 v[78:79], v[82:83], s[26:27], -v[78:79]
	;; [unrolled: 1-line block ×4, first 2 shown]
	v_fma_f64 v[80:81], v[50:51], s[34:35], v[216:217]
	v_fma_f64 v[82:83], v[44:45], s[34:35], v[218:219]
	v_fma_f64 v[46:47], v[46:47], s[20:21], -v[216:217]
	v_fma_f64 v[40:41], v[40:41], s[20:21], -v[218:219]
	;; [unrolled: 1-line block ×4, first 2 shown]
	v_add_f64 v[216:217], v[58:59], v[48:49]
	v_add_f64 v[60:61], v[60:61], v[52:53]
	;; [unrolled: 1-line block ×6, first 2 shown]
	v_fma_f64 v[80:81], v[42:43], s[28:29], v[80:81]
	v_fma_f64 v[82:83], v[36:37], s[28:29], v[82:83]
	;; [unrolled: 1-line block ×6, first 2 shown]
	v_add_f64 v[42:43], v[60:61], -v[80:81]
	v_add_f64 v[40:41], v[82:83], v[216:217]
	v_add_f64 v[50:51], v[54:55], v[76:77]
	v_add_f64 v[54:55], v[76:77], -v[54:55]
	v_add_f64 v[44:45], v[36:37], v[78:79]
	v_add_f64 v[56:57], v[78:79], -v[36:37]
	v_add_f64 v[76:77], v[216:217], -v[82:83]
	v_add_f64 v[78:79], v[80:81], v[60:61]
	v_add_f64 v[36:37], v[38:39], v[220:221]
	;; [unrolled: 1-line block ×5, first 2 shown]
	v_add_f64 v[38:39], v[38:39], -v[220:221]
	v_add_f64 v[62:63], v[62:63], -v[222:223]
	;; [unrolled: 1-line block ×4, first 2 shown]
	v_add_f64 v[92:93], v[2:3], v[28:29]
	v_add_f64 v[94:95], v[26:27], v[30:31]
	v_add_f64 v[2:3], v[28:29], -v[2:3]
	v_add_f64 v[26:27], v[30:31], -v[26:27]
	v_add_f64 v[28:29], v[80:81], v[36:37]
	v_add_f64 v[30:31], v[82:83], v[60:61]
	v_add_f64 v[46:47], v[218:219], -v[224:225]
	v_add_f64 v[48:49], v[58:59], -v[52:53]
	;; [unrolled: 4-line block ×3, first 2 shown]
	v_add_f64 v[36:37], v[36:37], -v[92:93]
	v_add_f64 v[60:61], v[60:61], -v[94:95]
	;; [unrolled: 1-line block ×4, first 2 shown]
	v_add_f64 v[220:221], v[2:3], v[0:1]
	v_add_f64 v[222:223], v[26:27], v[24:25]
	v_add_f64 v[224:225], v[2:3], -v[0:1]
	v_add_f64 v[226:227], v[26:27], -v[24:25]
	;; [unrolled: 1-line block ×4, first 2 shown]
	v_add_f64 v[28:29], v[92:93], v[28:29]
	v_add_f64 v[30:31], v[94:95], v[30:31]
	v_add_f64 v[228:229], v[38:39], -v[2:3]
	v_add_f64 v[26:27], v[62:63], -v[26:27]
	v_add_f64 v[38:39], v[220:221], v[38:39]
	v_add_f64 v[62:63], v[222:223], v[62:63]
	v_mul_f64 v[92:93], v[224:225], s[22:23]
	v_mul_f64 v[94:95], v[226:227], s[22:23]
	v_add_f64 v[0:1], v[4:5], v[28:29]
	v_add_f64 v[2:3], v[6:7], v[30:31]
	v_mul_f64 v[4:5], v[36:37], s[18:19]
	v_mul_f64 v[6:7], v[60:61], s[18:19]
	;; [unrolled: 1-line block ×6, first 2 shown]
	v_fma_f64 v[28:29], v[28:29], s[24:25], v[0:1]
	v_fma_f64 v[30:31], v[30:31], s[24:25], v[2:3]
	;; [unrolled: 1-line block ×4, first 2 shown]
	v_fma_f64 v[36:37], v[216:217], s[26:27], -v[36:37]
	v_fma_f64 v[60:61], v[218:219], s[26:27], -v[60:61]
	v_fma_f64 v[4:5], v[216:217], s[30:31], -v[4:5]
	v_fma_f64 v[6:7], v[218:219], s[30:31], -v[6:7]
	v_fma_f64 v[216:217], v[228:229], s[34:35], v[92:93]
	v_fma_f64 v[218:219], v[26:27], s[34:35], v[94:95]
	v_fma_f64 v[92:93], v[230:231], s[20:21], -v[92:93]
	v_fma_f64 v[24:25], v[24:25], s[20:21], -v[94:95]
	;; [unrolled: 1-line block ×4, first 2 shown]
	v_add_f64 v[4:5], v[4:5], v[28:29]
	v_add_f64 v[6:7], v[6:7], v[30:31]
	v_fma_f64 v[216:217], v[38:39], s[28:29], v[216:217]
	v_add_f64 v[36:37], v[36:37], v[28:29]
	v_fma_f64 v[92:93], v[38:39], s[28:29], v[92:93]
	v_add_f64 v[60:61], v[60:61], v[30:31]
	v_fma_f64 v[38:39], v[38:39], s[28:29], v[94:95]
	v_fma_f64 v[26:27], v[62:63], s[28:29], v[26:27]
	v_fma_f64 v[24:25], v[62:63], s[28:29], v[24:25]
	v_add_f64 v[80:81], v[80:81], v[28:29]
	v_add_f64 v[82:83], v[82:83], v[30:31]
	v_fma_f64 v[218:219], v[62:63], s[28:29], v[218:219]
	v_add_f64 v[96:97], v[6:7], -v[38:39]
	v_add_f64 v[94:95], v[26:27], v[4:5]
	buffer_store_dword v94, off, s[40:43], 0 ; 4-byte Folded Spill
	s_nop 0
	buffer_store_dword v95, off, s[40:43], 0 offset:4 ; 4-byte Folded Spill
	buffer_store_dword v96, off, s[40:43], 0 offset:8 ; 4-byte Folded Spill
	;; [unrolled: 1-line block ×3, first 2 shown]
	v_add_f64 v[94:95], v[36:37], -v[24:25]
	v_add_f64 v[96:97], v[92:93], v[60:61]
	buffer_store_dword v94, off, s[40:43], 0 offset:16 ; 4-byte Folded Spill
	s_nop 0
	buffer_store_dword v95, off, s[40:43], 0 offset:20 ; 4-byte Folded Spill
	buffer_store_dword v96, off, s[40:43], 0 offset:24 ; 4-byte Folded Spill
	;; [unrolled: 1-line block ×3, first 2 shown]
	v_add_f64 v[94:95], v[24:25], v[36:37]
	v_add_f64 v[96:97], v[60:61], -v[92:93]
	v_add_f64 v[4:5], v[4:5], -v[26:27]
	v_add_f64 v[6:7], v[38:39], v[6:7]
	buffer_store_dword v94, off, s[40:43], 0 offset:32 ; 4-byte Folded Spill
	s_nop 0
	buffer_store_dword v95, off, s[40:43], 0 offset:36 ; 4-byte Folded Spill
	buffer_store_dword v96, off, s[40:43], 0 offset:40 ; 4-byte Folded Spill
	;; [unrolled: 1-line block ×4, first 2 shown]
	s_nop 0
	buffer_store_dword v5, off, s[40:43], 0 offset:52 ; 4-byte Folded Spill
	buffer_store_dword v6, off, s[40:43], 0 offset:56 ; 4-byte Folded Spill
	;; [unrolled: 1-line block ×3, first 2 shown]
	v_add_f64 v[4:5], v[80:81], -v[218:219]
	v_add_f64 v[6:7], v[216:217], v[82:83]
	v_add_f64 v[28:29], v[218:219], v[80:81]
	v_add_f64 v[30:31], v[82:83], -v[216:217]
	buffer_store_dword v4, off, s[40:43], 0 offset:64 ; 4-byte Folded Spill
	s_nop 0
	buffer_store_dword v5, off, s[40:43], 0 offset:68 ; 4-byte Folded Spill
	buffer_store_dword v6, off, s[40:43], 0 offset:72 ; 4-byte Folded Spill
	;; [unrolled: 1-line block ×3, first 2 shown]
	v_mul_u32_u24_e32 v4, 0x17a, v84
	v_add_lshl_u32 v4, v4, v86, 4
	s_waitcnt vmcnt(0)
	s_barrier
	ds_write_b128 v4, v[12:15]
	ds_write_b128 v4, v[16:19] offset:864
	ds_write_b128 v4, v[20:23] offset:1728
	;; [unrolled: 1-line block ×5, first 2 shown]
	buffer_store_dword v4, off, s[40:43], 0 offset:504 ; 4-byte Folded Spill
	ds_write_b128 v4, v[72:75] offset:5184
	v_mul_u32_u24_e32 v4, 0x17a, v85
	v_add_lshl_u32 v4, v4, v87, 4
	ds_write_b128 v4, v[8:11]
	ds_write_b128 v4, v[40:43] offset:864
	ds_write_b128 v4, v[44:47] offset:1728
	;; [unrolled: 1-line block ×5, first 2 shown]
	buffer_store_dword v4, off, s[40:43], 0 offset:508 ; 4-byte Folded Spill
	ds_write_b128 v4, v[76:79] offset:5184
	v_lshlrev_b32_e32 v4, 4, v91
	buffer_store_dword v4, off, s[40:43], 0 offset:496 ; 4-byte Folded Spill
	s_and_saveexec_b64 s[14:15], s[2:3]
	s_cbranch_execz .LBB0_11
; %bb.10:
	buffer_load_dword v4, off, s[40:43], 0 offset:496 ; 4-byte Folded Reload
	s_waitcnt vmcnt(0)
	ds_write_b128 v4, v[0:3] offset:24192
	ds_write_b128 v4, v[28:31] offset:25056
	buffer_load_dword v0, off, s[40:43], 0  ; 4-byte Folded Reload
	buffer_load_dword v1, off, s[40:43], 0 offset:4 ; 4-byte Folded Reload
	buffer_load_dword v2, off, s[40:43], 0 offset:8 ; 4-byte Folded Reload
	buffer_load_dword v3, off, s[40:43], 0 offset:12 ; 4-byte Folded Reload
	s_waitcnt vmcnt(0)
	ds_write_b128 v4, v[0:3] offset:25920
	buffer_load_dword v0, off, s[40:43], 0 offset:16 ; 4-byte Folded Reload
	buffer_load_dword v1, off, s[40:43], 0 offset:20 ; 4-byte Folded Reload
	buffer_load_dword v2, off, s[40:43], 0 offset:24 ; 4-byte Folded Reload
	buffer_load_dword v3, off, s[40:43], 0 offset:28 ; 4-byte Folded Reload
	s_waitcnt vmcnt(0)
	ds_write_b128 v4, v[0:3] offset:26784
	buffer_load_dword v0, off, s[40:43], 0 offset:32 ; 4-byte Folded Reload
	;; [unrolled: 6-line block ×4, first 2 shown]
	buffer_load_dword v1, off, s[40:43], 0 offset:68 ; 4-byte Folded Reload
	buffer_load_dword v2, off, s[40:43], 0 offset:72 ; 4-byte Folded Reload
	;; [unrolled: 1-line block ×3, first 2 shown]
	s_waitcnt vmcnt(0)
	ds_write_b128 v4, v[0:3] offset:29376
.LBB0_11:
	s_or_b64 exec, exec, s[14:15]
	v_mov_b32_e32 v0, s17
	v_addc_co_u32_e64 v91, vcc, 0, v0, s[6:7]
	v_lshlrev_b32_e32 v60, 6, v103
	v_add_co_u32_e32 v62, vcc, s4, v60
	v_mov_b32_e32 v68, s5
	v_addc_co_u32_e32 v63, vcc, 0, v68, vcc
	s_movk_i32 s6, 0x1780
	v_add_co_u32_e32 v60, vcc, s6, v62
	v_addc_co_u32_e32 v61, vcc, 0, v63, vcc
	s_movk_i32 s5, 0x1000
	v_add_co_u32_e32 v62, vcc, s5, v62
	v_addc_co_u32_e32 v63, vcc, 0, v63, vcc
	s_waitcnt vmcnt(0) lgkmcnt(0)
	s_barrier
	ds_read_b128 v[40:43], v90
	ds_read_b128 v[0:3], v90 offset:6048
	ds_read_b128 v[4:7], v90 offset:12096
	;; [unrolled: 1-line block ×14, first 2 shown]
	global_load_dwordx4 v[220:223], v[62:63], off offset:1920
	global_load_dwordx4 v[216:219], v[60:61], off offset:48
	;; [unrolled: 1-line block ×4, first 2 shown]
	s_mov_b32 s14, 0x134454ff
	s_mov_b32 s15, 0x3fee6f0e
	;; [unrolled: 1-line block ×5, first 2 shown]
	s_waitcnt vmcnt(3) lgkmcnt(13)
	v_mul_f64 v[60:61], v[2:3], v[222:223]
	v_fma_f64 v[84:85], v[0:1], v[220:221], -v[60:61]
	v_mul_f64 v[0:1], v[0:1], v[222:223]
	v_fma_f64 v[0:1], v[2:3], v[220:221], v[0:1]
	s_waitcnt vmcnt(0) lgkmcnt(12)
	v_mul_f64 v[2:3], v[6:7], v[230:231]
	v_fma_f64 v[240:241], v[4:5], v[228:229], -v[2:3]
	v_mul_f64 v[2:3], v[4:5], v[230:231]
	v_fma_f64 v[82:83], v[6:7], v[228:229], v[2:3]
	s_waitcnt lgkmcnt(11)
	v_mul_f64 v[2:3], v[10:11], v[226:227]
	v_fma_f64 v[242:243], v[8:9], v[224:225], -v[2:3]
	v_mul_f64 v[2:3], v[8:9], v[226:227]
	v_fma_f64 v[236:237], v[10:11], v[224:225], v[2:3]
	s_waitcnt lgkmcnt(10)
	v_mul_f64 v[2:3], v[14:15], v[218:219]
	v_fma_f64 v[86:87], v[12:13], v[216:217], -v[2:3]
	v_mul_f64 v[2:3], v[12:13], v[218:219]
	v_add_f64 v[92:93], v[86:87], -v[242:243]
	v_fma_f64 v[238:239], v[14:15], v[216:217], v[2:3]
	v_lshlrev_b32_e32 v2, 6, v244
	v_add_co_u32_e32 v4, vcc, s4, v2
	v_addc_co_u32_e32 v5, vcc, 0, v68, vcc
	v_add_co_u32_e32 v2, vcc, s6, v4
	v_addc_co_u32_e32 v3, vcc, 0, v5, vcc
	;; [unrolled: 2-line block ×3, first 2 shown]
	global_load_dwordx4 v[248:251], v[4:5], off offset:1920
	global_load_dwordx4 v[244:247], v[2:3], off offset:48
	;; [unrolled: 1-line block ×4, first 2 shown]
	v_add_f64 v[94:95], v[242:243], -v[86:87]
	s_waitcnt vmcnt(3) lgkmcnt(8)
	v_mul_f64 v[4:5], v[16:17], v[250:251]
	v_mul_f64 v[2:3], v[18:19], v[250:251]
	v_fma_f64 v[60:61], v[18:19], v[248:249], v[4:5]
	s_waitcnt vmcnt(0) lgkmcnt(7)
	v_mul_f64 v[4:5], v[22:23], v[10:11]
	v_fma_f64 v[2:3], v[16:17], v[248:249], -v[2:3]
	v_fma_f64 v[70:71], v[20:21], v[8:9], -v[4:5]
	v_mul_f64 v[4:5], v[20:21], v[10:11]
	v_fma_f64 v[62:63], v[22:23], v[8:9], v[4:5]
	s_waitcnt lgkmcnt(6)
	v_mul_f64 v[4:5], v[26:27], v[254:255]
	v_fma_f64 v[74:75], v[24:25], v[252:253], -v[4:5]
	v_mul_f64 v[4:5], v[24:25], v[254:255]
	v_fma_f64 v[64:65], v[26:27], v[252:253], v[4:5]
	s_waitcnt lgkmcnt(5)
	v_mul_f64 v[4:5], v[58:59], v[246:247]
	v_fma_f64 v[78:79], v[56:57], v[244:245], -v[4:5]
	v_mul_f64 v[4:5], v[56:57], v[246:247]
	v_fma_f64 v[66:67], v[58:59], v[244:245], v[4:5]
	v_lshlrev_b32_e32 v4, 6, v89
	v_add_co_u32_e32 v6, vcc, s4, v4
	v_addc_co_u32_e32 v7, vcc, 0, v68, vcc
	v_add_co_u32_e32 v4, vcc, s6, v6
	v_addc_co_u32_e32 v5, vcc, 0, v7, vcc
	;; [unrolled: 2-line block ×3, first 2 shown]
	global_load_dwordx4 v[20:23], v[6:7], off offset:1920
	global_load_dwordx4 v[12:15], v[4:5], off offset:48
	;; [unrolled: 1-line block ×4, first 2 shown]
	s_mov_b32 s6, 0x4755a5e
	s_mov_b32 s7, 0x3fe2cf23
	;; [unrolled: 1-line block ×5, first 2 shown]
	s_waitcnt vmcnt(3) lgkmcnt(3)
	v_mul_f64 v[4:5], v[234:235], v[22:23]
	s_waitcnt vmcnt(0) lgkmcnt(2)
	v_mul_f64 v[6:7], v[54:55], v[26:27]
	v_fma_f64 v[68:69], v[232:233], v[20:21], -v[4:5]
	v_mul_f64 v[4:5], v[232:233], v[22:23]
	v_fma_f64 v[72:73], v[52:53], v[24:25], -v[6:7]
	v_mul_f64 v[6:7], v[52:53], v[26:27]
	s_waitcnt lgkmcnt(1)
	v_mul_f64 v[52:53], v[50:51], v[18:19]
	v_fma_f64 v[4:5], v[234:235], v[20:21], v[4:5]
	v_fma_f64 v[6:7], v[54:55], v[24:25], v[6:7]
	v_fma_f64 v[76:77], v[48:49], v[16:17], -v[52:53]
	v_mul_f64 v[48:49], v[48:49], v[18:19]
	v_add_f64 v[54:55], v[82:83], -v[236:237]
	v_add_f64 v[52:53], v[84:85], -v[240:241]
	v_fma_f64 v[56:57], v[50:51], v[16:17], v[48:49]
	s_waitcnt lgkmcnt(0)
	v_mul_f64 v[48:49], v[46:47], v[14:15]
	v_add_f64 v[50:51], v[0:1], -v[238:239]
	v_add_f64 v[92:93], v[52:53], v[92:93]
	v_fma_f64 v[80:81], v[44:45], v[12:13], -v[48:49]
	v_mul_f64 v[44:45], v[44:45], v[14:15]
	v_fma_f64 v[58:59], v[46:47], v[12:13], v[44:45]
	v_add_f64 v[46:47], v[240:241], v[242:243]
	v_add_f64 v[44:45], v[40:41], v[84:85]
	v_fma_f64 v[46:47], v[46:47], -0.5, v[40:41]
	v_add_f64 v[44:45], v[44:45], v[240:241]
	v_fma_f64 v[48:49], v[50:51], s[14:15], v[46:47]
	v_fma_f64 v[46:47], v[50:51], s[16:17], v[46:47]
	v_add_f64 v[44:45], v[44:45], v[242:243]
	v_fma_f64 v[48:49], v[54:55], s[6:7], v[48:49]
	v_fma_f64 v[46:47], v[54:55], s[18:19], v[46:47]
	;; [unrolled: 3-line block ×3, first 2 shown]
	v_add_f64 v[46:47], v[84:85], v[86:87]
	v_add_f64 v[92:93], v[240:241], -v[84:85]
	v_add_f64 v[84:85], v[84:85], -v[86:87]
	;; [unrolled: 1-line block ×3, first 2 shown]
	v_fma_f64 v[40:41], v[46:47], -0.5, v[40:41]
	v_add_f64 v[92:93], v[92:93], v[94:95]
	v_add_f64 v[94:95], v[238:239], -v[236:237]
	v_fma_f64 v[46:47], v[54:55], s[16:17], v[40:41]
	v_fma_f64 v[40:41], v[54:55], s[14:15], v[40:41]
	;; [unrolled: 1-line block ×4, first 2 shown]
	v_add_f64 v[50:51], v[82:83], v[236:237]
	v_fma_f64 v[232:233], v[92:93], s[4:5], v[46:47]
	v_fma_f64 v[40:41], v[92:93], s[4:5], v[40:41]
	v_fma_f64 v[50:51], v[50:51], -0.5, v[42:43]
	v_add_f64 v[92:93], v[0:1], -v[82:83]
	v_add_f64 v[46:47], v[42:43], v[0:1]
	v_fma_f64 v[54:55], v[84:85], s[16:17], v[50:51]
	v_fma_f64 v[50:51], v[84:85], s[14:15], v[50:51]
	v_add_f64 v[92:93], v[92:93], v[94:95]
	v_add_f64 v[46:47], v[46:47], v[82:83]
	v_add_f64 v[94:95], v[78:79], -v[74:75]
	v_fma_f64 v[54:55], v[86:87], s[18:19], v[54:55]
	v_fma_f64 v[50:51], v[86:87], s[6:7], v[50:51]
	v_add_f64 v[46:47], v[46:47], v[236:237]
	v_fma_f64 v[54:55], v[92:93], s[4:5], v[54:55]
	v_fma_f64 v[50:51], v[92:93], s[4:5], v[50:51]
	v_add_f64 v[92:93], v[0:1], v[238:239]
	v_add_f64 v[0:1], v[82:83], -v[0:1]
	v_add_f64 v[82:83], v[236:237], -v[238:239]
	v_add_f64 v[46:47], v[46:47], v[238:239]
	v_fma_f64 v[42:43], v[92:93], -0.5, v[42:43]
	v_add_f64 v[0:1], v[0:1], v[82:83]
	v_fma_f64 v[92:93], v[86:87], s[14:15], v[42:43]
	v_fma_f64 v[42:43], v[86:87], s[16:17], v[42:43]
	v_add_f64 v[86:87], v[62:63], -v[64:65]
	v_fma_f64 v[92:93], v[84:85], s[18:19], v[92:93]
	v_fma_f64 v[42:43], v[84:85], s[6:7], v[42:43]
	v_add_f64 v[84:85], v[60:61], -v[66:67]
	v_fma_f64 v[234:235], v[0:1], s[4:5], v[92:93]
	v_fma_f64 v[42:43], v[0:1], s[4:5], v[42:43]
	v_add_f64 v[0:1], v[32:33], v[2:3]
	v_add_f64 v[92:93], v[2:3], -v[70:71]
	v_add_f64 v[0:1], v[0:1], v[70:71]
	v_add_f64 v[92:93], v[92:93], v[94:95]
	v_add_f64 v[94:95], v[74:75], -v[78:79]
	v_add_f64 v[0:1], v[0:1], v[74:75]
	v_add_f64 v[236:237], v[0:1], v[78:79]
	;; [unrolled: 1-line block ×3, first 2 shown]
	v_fma_f64 v[82:83], v[0:1], -0.5, v[32:33]
	v_fma_f64 v[0:1], v[84:85], s[14:15], v[82:83]
	v_fma_f64 v[82:83], v[84:85], s[16:17], v[82:83]
	;; [unrolled: 1-line block ×6, first 2 shown]
	v_add_f64 v[82:83], v[2:3], v[78:79]
	v_add_f64 v[92:93], v[70:71], -v[2:3]
	v_add_f64 v[78:79], v[2:3], -v[78:79]
	;; [unrolled: 1-line block ×4, first 2 shown]
	v_fma_f64 v[32:33], v[82:83], -0.5, v[32:33]
	v_add_f64 v[92:93], v[92:93], v[94:95]
	v_fma_f64 v[82:83], v[86:87], s[16:17], v[32:33]
	v_fma_f64 v[32:33], v[86:87], s[14:15], v[32:33]
	v_fma_f64 v[82:83], v[84:85], s[6:7], v[82:83]
	v_fma_f64 v[32:33], v[84:85], s[18:19], v[32:33]
	v_add_f64 v[84:85], v[66:67], -v[64:65]
	v_fma_f64 v[82:83], v[92:93], s[4:5], v[82:83]
	v_fma_f64 v[92:93], v[92:93], s[4:5], v[32:33]
	v_add_f64 v[32:33], v[34:35], v[60:61]
	v_add_f64 v[74:75], v[74:75], v[84:85]
	;; [unrolled: 1-line block ×6, first 2 shown]
	v_fma_f64 v[32:33], v[32:33], -0.5, v[34:35]
	v_fma_f64 v[2:3], v[78:79], s[16:17], v[32:33]
	v_fma_f64 v[32:33], v[78:79], s[14:15], v[32:33]
	;; [unrolled: 1-line block ×6, first 2 shown]
	v_add_f64 v[32:33], v[60:61], v[66:67]
	v_add_f64 v[60:61], v[62:63], -v[60:61]
	v_add_f64 v[62:63], v[64:65], -v[66:67]
	;; [unrolled: 1-line block ×5, first 2 shown]
	v_fma_f64 v[32:33], v[32:33], -0.5, v[34:35]
	v_add_f64 v[60:61], v[60:61], v[62:63]
	v_fma_f64 v[34:35], v[70:71], s[14:15], v[32:33]
	v_fma_f64 v[32:33], v[70:71], s[16:17], v[32:33]
	v_add_f64 v[70:71], v[80:81], -v[76:77]
	v_fma_f64 v[34:35], v[78:79], s[18:19], v[34:35]
	v_fma_f64 v[32:33], v[78:79], s[6:7], v[32:33]
	v_add_f64 v[70:71], v[64:65], v[70:71]
	v_fma_f64 v[84:85], v[60:61], s[4:5], v[34:35]
	v_fma_f64 v[94:95], v[60:61], s[4:5], v[32:33]
	v_add_f64 v[32:33], v[36:37], v[68:69]
	v_add_f64 v[34:35], v[4:5], -v[58:59]
	v_add_f64 v[32:33], v[32:33], v[72:73]
	v_add_f64 v[32:33], v[32:33], v[76:77]
	;; [unrolled: 1-line block ×4, first 2 shown]
	v_fma_f64 v[32:33], v[32:33], -0.5, v[36:37]
	v_fma_f64 v[62:63], v[34:35], s[14:15], v[32:33]
	v_fma_f64 v[32:33], v[34:35], s[16:17], v[32:33]
	;; [unrolled: 1-line block ×5, first 2 shown]
	v_add_f64 v[62:63], v[68:69], v[80:81]
	v_fma_f64 v[32:33], v[70:71], s[4:5], v[32:33]
	v_add_f64 v[70:71], v[72:73], -v[68:69]
	v_add_f64 v[68:69], v[68:69], -v[80:81]
	;; [unrolled: 1-line block ×4, first 2 shown]
	v_fma_f64 v[62:63], v[62:63], -0.5, v[36:37]
	v_add_f64 v[70:71], v[70:71], v[74:75]
	v_add_f64 v[74:75], v[4:5], -v[6:7]
	v_fma_f64 v[36:37], v[66:67], s[16:17], v[62:63]
	v_fma_f64 v[62:63], v[66:67], s[14:15], v[62:63]
	v_add_f64 v[74:75], v[74:75], v[76:77]
	v_fma_f64 v[36:37], v[34:35], s[6:7], v[36:37]
	v_fma_f64 v[34:35], v[34:35], s[18:19], v[62:63]
	;; [unrolled: 1-line block ×4, first 2 shown]
	v_add_f64 v[34:35], v[38:39], v[4:5]
	v_add_f64 v[34:35], v[34:35], v[6:7]
	;; [unrolled: 1-line block ×5, first 2 shown]
	v_fma_f64 v[34:35], v[34:35], -0.5, v[38:39]
	v_fma_f64 v[66:67], v[68:69], s[16:17], v[34:35]
	v_fma_f64 v[34:35], v[68:69], s[14:15], v[34:35]
	;; [unrolled: 1-line block ×6, first 2 shown]
	v_add_f64 v[74:75], v[4:5], v[58:59]
	v_add_f64 v[4:5], v[6:7], -v[4:5]
	v_add_f64 v[6:7], v[56:57], -v[58:59]
	v_fma_f64 v[74:75], v[74:75], -0.5, v[38:39]
	v_add_f64 v[4:5], v[4:5], v[6:7]
	v_fma_f64 v[38:39], v[72:73], s[14:15], v[74:75]
	v_fma_f64 v[6:7], v[72:73], s[16:17], v[74:75]
	;; [unrolled: 1-line block ×4, first 2 shown]
	s_movk_i32 s6, 0x7000
	v_fma_f64 v[38:39], v[4:5], s[4:5], v[38:39]
	v_fma_f64 v[72:73], v[4:5], s[4:5], v[6:7]
	s_movk_i32 s4, 0x7620
	ds_write_b128 v90, v[44:47]
	ds_write_b128 v90, v[52:55] offset:6048
	ds_write_b128 v90, v[232:235] offset:12096
	;; [unrolled: 1-line block ×14, first 2 shown]
	v_add_co_u32_e32 v0, vcc, s4, v88
	v_addc_co_u32_e32 v1, vcc, 0, v91, vcc
	v_add_co_u32_e32 v6, vcc, s6, v88
	v_addc_co_u32_e32 v7, vcc, 0, v91, vcc
	s_waitcnt lgkmcnt(0)
	s_barrier
	global_load_dwordx4 v[36:39], v[6:7], off offset:1568
	ds_read_b128 v[2:5], v90
	s_mov_b32 s4, 0xb000
	s_waitcnt vmcnt(0) lgkmcnt(0)
	v_mul_f64 v[6:7], v[4:5], v[38:39]
	v_fma_f64 v[40:41], v[2:3], v[36:37], -v[6:7]
	v_mul_f64 v[2:3], v[2:3], v[38:39]
	v_add_co_u32_e32 v6, vcc, s4, v88
	v_addc_co_u32_e32 v7, vcc, 0, v91, vcc
	s_mov_b32 s4, 0xc000
	v_fma_f64 v[42:43], v[4:5], v[36:37], v[2:3]
	global_load_dwordx4 v[36:39], v[6:7], off offset:304
	ds_read_b128 v[2:5], v90 offset:15120
	ds_write_b128 v90, v[40:43]
	s_waitcnt vmcnt(0) lgkmcnt(1)
	v_mul_f64 v[40:41], v[4:5], v[38:39]
	v_fma_f64 v[40:41], v[2:3], v[36:37], -v[40:41]
	v_mul_f64 v[2:3], v[2:3], v[38:39]
	v_fma_f64 v[42:43], v[4:5], v[36:37], v[2:3]
	global_load_dwordx4 v[36:39], v[0:1], off offset:2016
	ds_read_b128 v[2:5], v90 offset:2016
	ds_write_b128 v90, v[40:43] offset:15120
	s_waitcnt vmcnt(0) lgkmcnt(1)
	v_mul_f64 v[40:41], v[4:5], v[38:39]
	v_fma_f64 v[40:41], v[2:3], v[36:37], -v[40:41]
	v_mul_f64 v[2:3], v[2:3], v[38:39]
	v_fma_f64 v[42:43], v[4:5], v[36:37], v[2:3]
	global_load_dwordx4 v[36:39], v[6:7], off offset:2320
	ds_read_b128 v[2:5], v90 offset:17136
	ds_write_b128 v90, v[40:43] offset:2016
	;; [unrolled: 8-line block ×3, first 2 shown]
	s_waitcnt vmcnt(0) lgkmcnt(1)
	v_mul_f64 v[6:7], v[4:5], v[38:39]
	v_fma_f64 v[40:41], v[2:3], v[36:37], -v[6:7]
	v_mul_f64 v[2:3], v[2:3], v[38:39]
	v_add_co_u32_e32 v6, vcc, s4, v88
	v_addc_co_u32_e32 v7, vcc, 0, v91, vcc
	s_mov_b32 s4, 0x8000
	v_fma_f64 v[42:43], v[4:5], v[36:37], v[2:3]
	global_load_dwordx4 v[36:39], v[6:7], off offset:240
	ds_read_b128 v[2:5], v90 offset:19152
	ds_write_b128 v90, v[40:43] offset:4032
	s_waitcnt vmcnt(0) lgkmcnt(1)
	v_mul_f64 v[40:41], v[4:5], v[38:39]
	v_fma_f64 v[40:41], v[2:3], v[36:37], -v[40:41]
	v_mul_f64 v[2:3], v[2:3], v[38:39]
	v_fma_f64 v[42:43], v[4:5], v[36:37], v[2:3]
	v_add_co_u32_e32 v36, vcc, s4, v88
	v_addc_co_u32_e32 v37, vcc, 0, v91, vcc
	global_load_dwordx4 v[36:39], v[36:37], off offset:3520
	ds_read_b128 v[2:5], v90 offset:6048
	s_mov_b32 s4, 0x9000
	ds_write_b128 v90, v[40:43] offset:19152
	s_waitcnt vmcnt(0) lgkmcnt(1)
	v_mul_f64 v[40:41], v[4:5], v[38:39]
	v_fma_f64 v[40:41], v[2:3], v[36:37], -v[40:41]
	v_mul_f64 v[2:3], v[2:3], v[38:39]
	v_fma_f64 v[42:43], v[4:5], v[36:37], v[2:3]
	global_load_dwordx4 v[36:39], v[6:7], off offset:2256
	ds_read_b128 v[2:5], v90 offset:21168
	ds_write_b128 v90, v[40:43] offset:6048
	s_waitcnt vmcnt(0) lgkmcnt(1)
	v_mul_f64 v[6:7], v[4:5], v[38:39]
	v_fma_f64 v[40:41], v[2:3], v[36:37], -v[6:7]
	v_mul_f64 v[2:3], v[2:3], v[38:39]
	v_add_co_u32_e32 v6, vcc, s4, v88
	v_addc_co_u32_e32 v7, vcc, 0, v91, vcc
	s_mov_b32 s4, 0xd000
	v_add_co_u32_e32 v44, vcc, s4, v88
	v_fma_f64 v[42:43], v[4:5], v[36:37], v[2:3]
	global_load_dwordx4 v[36:39], v[6:7], off offset:1440
	ds_read_b128 v[2:5], v90 offset:8064
	v_addc_co_u32_e32 v45, vcc, 0, v91, vcc
	s_mov_b32 s4, 0xa000
	ds_write_b128 v90, v[40:43] offset:21168
	s_waitcnt vmcnt(0) lgkmcnt(1)
	v_mul_f64 v[40:41], v[4:5], v[38:39]
	v_fma_f64 v[40:41], v[2:3], v[36:37], -v[40:41]
	v_mul_f64 v[2:3], v[2:3], v[38:39]
	v_fma_f64 v[42:43], v[4:5], v[36:37], v[2:3]
	global_load_dwordx4 v[36:39], v[44:45], off offset:176
	ds_read_b128 v[2:5], v90 offset:23184
	ds_write_b128 v90, v[40:43] offset:8064
	s_waitcnt vmcnt(0) lgkmcnt(1)
	v_mul_f64 v[40:41], v[4:5], v[38:39]
	v_fma_f64 v[40:41], v[2:3], v[36:37], -v[40:41]
	v_mul_f64 v[2:3], v[2:3], v[38:39]
	v_fma_f64 v[42:43], v[4:5], v[36:37], v[2:3]
	global_load_dwordx4 v[36:39], v[6:7], off offset:3456
	ds_read_b128 v[2:5], v90 offset:10080
	;; [unrolled: 8-line block ×3, first 2 shown]
	ds_write_b128 v90, v[40:43] offset:10080
	s_waitcnt vmcnt(0) lgkmcnt(1)
	v_mul_f64 v[6:7], v[4:5], v[38:39]
	v_fma_f64 v[40:41], v[2:3], v[36:37], -v[6:7]
	v_mul_f64 v[2:3], v[2:3], v[38:39]
	v_add_co_u32_e32 v6, vcc, s4, v88
	v_addc_co_u32_e32 v7, vcc, 0, v91, vcc
	s_mov_b32 s4, 0xe000
	v_fma_f64 v[42:43], v[4:5], v[36:37], v[2:3]
	global_load_dwordx4 v[36:39], v[6:7], off offset:1376
	ds_read_b128 v[2:5], v90 offset:12096
	ds_write_b128 v90, v[40:43] offset:25200
	s_waitcnt vmcnt(0) lgkmcnt(1)
	v_mul_f64 v[6:7], v[4:5], v[38:39]
	v_fma_f64 v[40:41], v[2:3], v[36:37], -v[6:7]
	v_mul_f64 v[2:3], v[2:3], v[38:39]
	v_add_co_u32_e32 v6, vcc, s4, v88
	v_addc_co_u32_e32 v7, vcc, 0, v91, vcc
	v_fma_f64 v[42:43], v[4:5], v[36:37], v[2:3]
	global_load_dwordx4 v[36:39], v[6:7], off offset:112
	ds_read_b128 v[2:5], v90 offset:27216
	ds_write_b128 v90, v[40:43] offset:12096
	s_waitcnt vmcnt(0) lgkmcnt(1)
	v_mul_f64 v[6:7], v[4:5], v[38:39]
	v_fma_f64 v[40:41], v[2:3], v[36:37], -v[6:7]
	v_mul_f64 v[2:3], v[2:3], v[38:39]
	v_fma_f64 v[42:43], v[4:5], v[36:37], v[2:3]
	ds_write_b128 v90, v[40:43] offset:27216
	s_and_saveexec_b64 s[4:5], s[0:1]
	s_cbranch_execz .LBB0_13
; %bb.12:
	v_add_co_u32_e32 v6, vcc, 0x3000, v0
	v_addc_co_u32_e32 v7, vcc, 0, v1, vcc
	global_load_dwordx4 v[36:39], v[6:7], off offset:1824
	ds_read_b128 v[2:5], v90 offset:14112
	v_add_co_u32_e32 v0, vcc, s6, v0
	v_addc_co_u32_e32 v1, vcc, 0, v1, vcc
	s_waitcnt vmcnt(0) lgkmcnt(0)
	v_mul_f64 v[6:7], v[4:5], v[38:39]
	v_fma_f64 v[40:41], v[2:3], v[36:37], -v[6:7]
	v_mul_f64 v[2:3], v[2:3], v[38:39]
	v_fma_f64 v[42:43], v[4:5], v[36:37], v[2:3]
	global_load_dwordx4 v[36:39], v[0:1], off offset:560
	ds_read_b128 v[2:5], v90 offset:29232
	ds_write_b128 v90, v[40:43] offset:14112
	s_waitcnt vmcnt(0) lgkmcnt(1)
	v_mul_f64 v[0:1], v[4:5], v[38:39]
	v_fma_f64 v[0:1], v[2:3], v[36:37], -v[0:1]
	v_mul_f64 v[2:3], v[2:3], v[38:39]
	v_fma_f64 v[2:3], v[4:5], v[36:37], v[2:3]
	ds_write_b128 v90, v[0:3] offset:29232
.LBB0_13:
	s_or_b64 exec, exec, s[4:5]
	buffer_load_dword v0, off, s[40:43], 0 offset:500 ; 4-byte Folded Reload
	s_waitcnt vmcnt(0) lgkmcnt(0)
	s_barrier
	v_add_u32_e32 v73, 0x4ec0, v0
	v_add_u32_e32 v72, 0x5e80, v0
	ds_read_b128 v[4:7], v90
	ds_read_b128 v[68:71], v90 offset:15120
	ds_read_b128 v[56:59], v90 offset:2016
	ds_read_b128 v[64:67], v90 offset:17136
	ds_read_b128 v[240:243], v90 offset:4032
	ds_read_b128 v[60:63], v90 offset:19152
	ds_read_b128 v[0:3], v90 offset:6048
	ds_read_b128 v[236:239], v90 offset:21168
	ds_read_b128 v[36:39], v90 offset:8064
	ds_read_b128 v[232:235], v90 offset:23184
	ds_read_b128 v[44:47], v90 offset:10080
	ds_read_b128 v[52:55], v90 offset:25200
	ds_read_b128 v[40:43], v90 offset:12096
	ds_read_b128 v[48:51], v90 offset:27216
	s_and_saveexec_b64 s[4:5], s[0:1]
	s_cbranch_execz .LBB0_15
; %bb.14:
	ds_read_b128 v[32:35], v90 offset:14112
	ds_read_b128 v[28:31], v90 offset:29232
.LBB0_15:
	s_or_b64 exec, exec, s[4:5]
	s_waitcnt lgkmcnt(0)
	s_barrier
	buffer_load_dword v86, off, s[40:43], 0 offset:476 ; 4-byte Folded Reload
	v_add_f64 v[68:69], v[4:5], -v[68:69]
	v_add_f64 v[70:71], v[6:7], -v[70:71]
	;; [unrolled: 1-line block ×8, first 2 shown]
	v_fma_f64 v[4:5], v[4:5], 2.0, -v[68:69]
	v_fma_f64 v[6:7], v[6:7], 2.0, -v[70:71]
	;; [unrolled: 1-line block ×8, first 2 shown]
	v_add_f64 v[82:83], v[36:37], -v[232:233]
	v_add_f64 v[84:85], v[38:39], -v[234:235]
	;; [unrolled: 1-line block ×8, first 2 shown]
	v_fma_f64 v[36:37], v[36:37], 2.0, -v[82:83]
	v_fma_f64 v[38:39], v[38:39], 2.0, -v[84:85]
	;; [unrolled: 1-line block ×6, first 2 shown]
	s_waitcnt vmcnt(0)
	ds_write_b128 v86, v[4:7]
	ds_write_b128 v86, v[68:71] offset:16
	buffer_load_dword v4, off, s[40:43], 0 offset:480 ; 4-byte Folded Reload
	s_waitcnt vmcnt(0)
	ds_write_b128 v4, v[56:59]
	ds_write_b128 v4, v[64:67] offset:16
	buffer_load_dword v4, off, s[40:43], 0 offset:484 ; 4-byte Folded Reload
	;; [unrolled: 4-line block ×4, first 2 shown]
	s_waitcnt vmcnt(0)
	ds_write_b128 v0, v[36:39]
	ds_write_b128 v0, v[82:85] offset:16
	ds_write_b128 v73, v[44:47]
	ds_write_b128 v73, v[52:55] offset:16
	;; [unrolled: 2-line block ×3, first 2 shown]
	s_and_saveexec_b64 s[4:5], s[0:1]
	s_cbranch_execz .LBB0_17
; %bb.16:
	buffer_load_dword v4, off, s[40:43], 0 offset:472 ; 4-byte Folded Reload
	v_fma_f64 v[2:3], v[34:35], 2.0, -v[30:31]
	v_fma_f64 v[0:1], v[32:33], 2.0, -v[28:29]
	s_waitcnt vmcnt(0)
	ds_write_b128 v4, v[0:3]
	ds_write_b128 v4, v[28:31] offset:16
.LBB0_17:
	s_or_b64 exec, exec, s[4:5]
	s_waitcnt lgkmcnt(0)
	s_barrier
	ds_read_b128 v[0:3], v90
	ds_read_b128 v[4:7], v90 offset:10080
	ds_read_b128 v[32:35], v90 offset:20160
	;; [unrolled: 1-line block ×14, first 2 shown]
	s_waitcnt lgkmcnt(13)
	v_mul_f64 v[84:85], v[214:215], v[6:7]
	s_mov_b32 s4, 0xe8584caa
	s_mov_b32 s5, 0xbfebb67a
	;; [unrolled: 1-line block ×4, first 2 shown]
	s_waitcnt lgkmcnt(0)
	s_barrier
	v_fma_f64 v[84:85], v[212:213], v[4:5], v[84:85]
	v_mul_f64 v[4:5], v[214:215], v[4:5]
	v_fma_f64 v[86:87], v[212:213], v[6:7], -v[4:5]
	v_mul_f64 v[4:5], v[210:211], v[34:35]
	v_fma_f64 v[91:92], v[208:209], v[32:33], v[4:5]
	v_mul_f64 v[4:5], v[210:211], v[32:33]
	v_add_f64 v[6:7], v[84:85], v[91:92]
	v_fma_f64 v[34:35], v[208:209], v[34:35], -v[4:5]
	v_mul_f64 v[4:5], v[214:215], v[42:43]
	v_fma_f64 v[6:7], v[6:7], -0.5, v[0:1]
	v_add_f64 v[32:33], v[86:87], -v[34:35]
	v_fma_f64 v[93:94], v[212:213], v[40:41], v[4:5]
	v_mul_f64 v[4:5], v[214:215], v[40:41]
	v_add_f64 v[40:41], v[84:85], -v[91:92]
	v_fma_f64 v[232:233], v[212:213], v[42:43], -v[4:5]
	v_mul_f64 v[4:5], v[210:211], v[46:47]
	v_fma_f64 v[234:235], v[208:209], v[44:45], v[4:5]
	v_mul_f64 v[4:5], v[210:211], v[44:45]
	v_add_f64 v[42:43], v[93:94], v[234:235]
	v_fma_f64 v[46:47], v[208:209], v[46:47], -v[4:5]
	v_mul_f64 v[4:5], v[214:215], v[54:55]
	v_fma_f64 v[42:43], v[42:43], -0.5, v[36:37]
	v_add_f64 v[44:45], v[232:233], -v[46:47]
	v_fma_f64 v[236:237], v[212:213], v[52:53], v[4:5]
	v_mul_f64 v[4:5], v[214:215], v[52:53]
	v_add_f64 v[52:53], v[93:94], -v[234:235]
	;; [unrolled: 12-line block ×4, first 2 shown]
	v_fma_f64 v[101:102], v[212:213], v[78:79], -v[4:5]
	v_mul_f64 v[4:5], v[210:211], v[82:83]
	v_fma_f64 v[212:213], v[208:209], v[80:81], v[4:5]
	v_mul_f64 v[4:5], v[210:211], v[80:81]
	v_add_f64 v[78:79], v[99:100], v[212:213]
	v_fma_f64 v[82:83], v[208:209], v[82:83], -v[4:5]
	v_add_f64 v[4:5], v[0:1], v[84:85]
	v_fma_f64 v[0:1], v[32:33], s[4:5], v[6:7]
	v_fma_f64 v[32:33], v[32:33], s[6:7], v[6:7]
	v_add_f64 v[6:7], v[2:3], v[86:87]
	v_add_f64 v[84:85], v[99:100], -v[212:213]
	v_fma_f64 v[78:79], v[78:79], -0.5, v[72:73]
	v_add_f64 v[80:81], v[101:102], -v[82:83]
	v_add_f64 v[4:5], v[4:5], v[91:92]
	v_add_f64 v[6:7], v[6:7], v[34:35]
	v_add_f64 v[34:35], v[86:87], v[34:35]
	v_fma_f64 v[34:35], v[34:35], -0.5, v[2:3]
	v_fma_f64 v[2:3], v[40:41], s[6:7], v[34:35]
	v_fma_f64 v[34:35], v[40:41], s[4:5], v[34:35]
	v_add_f64 v[40:41], v[36:37], v[93:94]
	v_fma_f64 v[36:37], v[44:45], s[4:5], v[42:43]
	v_fma_f64 v[44:45], v[44:45], s[6:7], v[42:43]
	v_add_f64 v[42:43], v[38:39], v[232:233]
	v_add_f64 v[40:41], v[40:41], v[234:235]
	v_add_f64 v[42:43], v[42:43], v[46:47]
	v_add_f64 v[46:47], v[232:233], v[46:47]
	v_fma_f64 v[46:47], v[46:47], -0.5, v[38:39]
	v_fma_f64 v[38:39], v[52:53], s[6:7], v[46:47]
	v_fma_f64 v[46:47], v[52:53], s[4:5], v[46:47]
	v_add_f64 v[52:53], v[48:49], v[236:237]
	v_fma_f64 v[48:49], v[56:57], s[4:5], v[54:55]
	v_fma_f64 v[56:57], v[56:57], s[6:7], v[54:55]
	v_add_f64 v[54:55], v[50:51], v[238:239]
	;; [unrolled: 10-line block ×4, first 2 shown]
	v_add_f64 v[76:77], v[76:77], v[212:213]
	v_add_f64 v[78:79], v[78:79], v[82:83]
	;; [unrolled: 1-line block ×3, first 2 shown]
	v_fma_f64 v[82:83], v[82:83], -0.5, v[74:75]
	v_fma_f64 v[74:75], v[84:85], s[6:7], v[82:83]
	v_fma_f64 v[82:83], v[84:85], s[4:5], v[82:83]
	buffer_load_dword v84, off, s[40:43], 0 offset:452 ; 4-byte Folded Reload
	s_waitcnt vmcnt(0)
	ds_write_b128 v84, v[4:7]
	ds_write_b128 v84, v[0:3] offset:32
	ds_write_b128 v84, v[32:35] offset:64
	buffer_load_dword v0, off, s[40:43], 0 offset:456 ; 4-byte Folded Reload
	s_waitcnt vmcnt(0)
	ds_write_b128 v0, v[40:43]
	ds_write_b128 v0, v[36:39] offset:32
	ds_write_b128 v0, v[44:47] offset:64
	;; [unrolled: 5-line block ×5, first 2 shown]
	s_waitcnt lgkmcnt(0)
	s_barrier
	ds_read_b128 v[0:3], v90
	ds_read_b128 v[4:7], v90 offset:10080
	ds_read_b128 v[32:35], v90 offset:20160
	ds_read_b128 v[36:39], v90 offset:2016
	ds_read_b128 v[40:43], v90 offset:12096
	ds_read_b128 v[44:47], v90 offset:22176
	ds_read_b128 v[48:51], v90 offset:4032
	ds_read_b128 v[52:55], v90 offset:14112
	ds_read_b128 v[56:59], v90 offset:24192
	ds_read_b128 v[60:63], v90 offset:6048
	ds_read_b128 v[64:67], v90 offset:16128
	ds_read_b128 v[68:71], v90 offset:26208
	ds_read_b128 v[72:75], v90 offset:8064
	ds_read_b128 v[76:79], v90 offset:18144
	ds_read_b128 v[80:83], v90 offset:28224
	s_waitcnt lgkmcnt(13)
	v_mul_f64 v[84:85], v[178:179], v[6:7]
	s_waitcnt lgkmcnt(0)
	s_barrier
	v_fma_f64 v[84:85], v[176:177], v[4:5], v[84:85]
	v_mul_f64 v[4:5], v[178:179], v[4:5]
	v_fma_f64 v[86:87], v[176:177], v[6:7], -v[4:5]
	v_mul_f64 v[4:5], v[170:171], v[34:35]
	v_fma_f64 v[91:92], v[168:169], v[32:33], v[4:5]
	v_mul_f64 v[4:5], v[170:171], v[32:33]
	v_add_f64 v[6:7], v[84:85], v[91:92]
	v_fma_f64 v[34:35], v[168:169], v[34:35], -v[4:5]
	v_mul_f64 v[4:5], v[186:187], v[42:43]
	v_fma_f64 v[6:7], v[6:7], -0.5, v[0:1]
	v_add_f64 v[32:33], v[86:87], -v[34:35]
	v_fma_f64 v[93:94], v[184:185], v[40:41], v[4:5]
	v_mul_f64 v[4:5], v[186:187], v[40:41]
	v_add_f64 v[40:41], v[84:85], -v[91:92]
	v_fma_f64 v[95:96], v[184:185], v[42:43], -v[4:5]
	v_mul_f64 v[4:5], v[174:175], v[46:47]
	v_fma_f64 v[97:98], v[172:173], v[44:45], v[4:5]
	v_mul_f64 v[4:5], v[174:175], v[44:45]
	v_add_f64 v[42:43], v[93:94], v[97:98]
	v_fma_f64 v[46:47], v[172:173], v[46:47], -v[4:5]
	v_mul_f64 v[4:5], v[194:195], v[54:55]
	v_fma_f64 v[42:43], v[42:43], -0.5, v[36:37]
	v_add_f64 v[44:45], v[95:96], -v[46:47]
	v_fma_f64 v[99:100], v[192:193], v[52:53], v[4:5]
	v_mul_f64 v[4:5], v[194:195], v[52:53]
	v_add_f64 v[52:53], v[93:94], -v[97:98]
	;; [unrolled: 12-line block ×4, first 2 shown]
	v_fma_f64 v[178:179], v[204:205], v[78:79], -v[4:5]
	v_mul_f64 v[4:5], v[202:203], v[82:83]
	v_fma_f64 v[180:181], v[200:201], v[80:81], v[4:5]
	v_mul_f64 v[4:5], v[202:203], v[80:81]
	v_add_f64 v[78:79], v[176:177], v[180:181]
	v_fma_f64 v[82:83], v[200:201], v[82:83], -v[4:5]
	v_add_f64 v[4:5], v[0:1], v[84:85]
	v_fma_f64 v[0:1], v[32:33], s[4:5], v[6:7]
	v_fma_f64 v[32:33], v[32:33], s[6:7], v[6:7]
	v_add_f64 v[6:7], v[2:3], v[86:87]
	v_add_f64 v[84:85], v[176:177], -v[180:181]
	v_fma_f64 v[78:79], v[78:79], -0.5, v[72:73]
	v_add_f64 v[80:81], v[178:179], -v[82:83]
	v_add_f64 v[4:5], v[4:5], v[91:92]
	v_add_f64 v[6:7], v[6:7], v[34:35]
	v_add_f64 v[34:35], v[86:87], v[34:35]
	v_fma_f64 v[34:35], v[34:35], -0.5, v[2:3]
	v_fma_f64 v[2:3], v[40:41], s[6:7], v[34:35]
	v_fma_f64 v[34:35], v[40:41], s[4:5], v[34:35]
	v_add_f64 v[40:41], v[36:37], v[93:94]
	v_fma_f64 v[36:37], v[44:45], s[4:5], v[42:43]
	v_fma_f64 v[44:45], v[44:45], s[6:7], v[42:43]
	v_add_f64 v[42:43], v[38:39], v[95:96]
	v_add_f64 v[40:41], v[40:41], v[97:98]
	v_add_f64 v[42:43], v[42:43], v[46:47]
	v_add_f64 v[46:47], v[95:96], v[46:47]
	v_fma_f64 v[46:47], v[46:47], -0.5, v[38:39]
	v_fma_f64 v[38:39], v[52:53], s[6:7], v[46:47]
	v_fma_f64 v[46:47], v[52:53], s[4:5], v[46:47]
	v_add_f64 v[52:53], v[48:49], v[99:100]
	v_fma_f64 v[48:49], v[56:57], s[4:5], v[54:55]
	v_fma_f64 v[56:57], v[56:57], s[6:7], v[54:55]
	v_add_f64 v[54:55], v[50:51], v[101:102]
	;; [unrolled: 10-line block ×4, first 2 shown]
	v_add_f64 v[76:77], v[76:77], v[180:181]
	v_add_f64 v[78:79], v[78:79], v[82:83]
	;; [unrolled: 1-line block ×3, first 2 shown]
	v_fma_f64 v[82:83], v[82:83], -0.5, v[74:75]
	v_fma_f64 v[74:75], v[84:85], s[6:7], v[82:83]
	v_fma_f64 v[82:83], v[84:85], s[4:5], v[82:83]
	buffer_load_dword v84, off, s[40:43], 0 offset:432 ; 4-byte Folded Reload
	s_waitcnt vmcnt(0)
	ds_write_b128 v84, v[4:7]
	ds_write_b128 v84, v[0:3] offset:96
	ds_write_b128 v84, v[32:35] offset:192
	buffer_load_dword v0, off, s[40:43], 0 offset:436 ; 4-byte Folded Reload
	s_waitcnt vmcnt(0)
	ds_write_b128 v0, v[40:43]
	ds_write_b128 v0, v[36:39] offset:96
	ds_write_b128 v0, v[44:47] offset:192
	;; [unrolled: 5-line block ×5, first 2 shown]
	s_waitcnt lgkmcnt(0)
	s_barrier
	ds_read_b128 v[0:3], v90
	ds_read_b128 v[4:7], v90 offset:10080
	ds_read_b128 v[32:35], v90 offset:20160
	;; [unrolled: 1-line block ×14, first 2 shown]
	s_waitcnt lgkmcnt(13)
	v_mul_f64 v[84:85], v[138:139], v[6:7]
	s_waitcnt lgkmcnt(0)
	s_barrier
	v_fma_f64 v[84:85], v[136:137], v[4:5], v[84:85]
	v_mul_f64 v[4:5], v[138:139], v[4:5]
	v_fma_f64 v[86:87], v[136:137], v[6:7], -v[4:5]
	v_mul_f64 v[4:5], v[130:131], v[34:35]
	v_fma_f64 v[91:92], v[128:129], v[32:33], v[4:5]
	v_mul_f64 v[4:5], v[130:131], v[32:33]
	v_add_f64 v[6:7], v[84:85], v[91:92]
	v_fma_f64 v[32:33], v[128:129], v[34:35], -v[4:5]
	v_mul_f64 v[4:5], v[146:147], v[42:43]
	v_fma_f64 v[6:7], v[6:7], -0.5, v[0:1]
	v_fma_f64 v[34:35], v[144:145], v[40:41], v[4:5]
	v_mul_f64 v[4:5], v[146:147], v[40:41]
	v_add_f64 v[40:41], v[86:87], -v[32:33]
	v_fma_f64 v[93:94], v[144:145], v[42:43], -v[4:5]
	v_mul_f64 v[4:5], v[134:135], v[46:47]
	v_add_f64 v[42:43], v[84:85], -v[91:92]
	v_fma_f64 v[95:96], v[132:133], v[44:45], v[4:5]
	v_mul_f64 v[4:5], v[134:135], v[44:45]
	v_fma_f64 v[97:98], v[132:133], v[46:47], -v[4:5]
	v_mul_f64 v[4:5], v[154:155], v[54:55]
	v_add_f64 v[46:47], v[93:94], -v[97:98]
	v_fma_f64 v[99:100], v[152:153], v[52:53], v[4:5]
	v_mul_f64 v[4:5], v[154:155], v[52:53]
	v_fma_f64 v[101:102], v[152:153], v[54:55], -v[4:5]
	v_mul_f64 v[4:5], v[142:143], v[58:59]
	v_fma_f64 v[128:129], v[140:141], v[56:57], v[4:5]
	v_mul_f64 v[4:5], v[142:143], v[56:57]
	v_fma_f64 v[130:131], v[140:141], v[58:59], -v[4:5]
	v_mul_f64 v[4:5], v[158:159], v[66:67]
	;; [unrolled: 4-line block ×5, first 2 shown]
	v_fma_f64 v[144:145], v[160:161], v[80:81], v[4:5]
	v_mul_f64 v[4:5], v[162:163], v[80:81]
	v_fma_f64 v[146:147], v[160:161], v[82:83], -v[4:5]
	v_add_f64 v[4:5], v[0:1], v[84:85]
	v_fma_f64 v[0:1], v[40:41], s[4:5], v[6:7]
	v_fma_f64 v[40:41], v[40:41], s[6:7], v[6:7]
	v_add_f64 v[6:7], v[2:3], v[86:87]
	v_add_f64 v[84:85], v[140:141], -v[144:145]
	v_add_f64 v[4:5], v[4:5], v[91:92]
	v_add_f64 v[6:7], v[6:7], v[32:33]
	;; [unrolled: 1-line block ×3, first 2 shown]
	v_fma_f64 v[32:33], v[32:33], -0.5, v[2:3]
	v_fma_f64 v[2:3], v[42:43], s[6:7], v[32:33]
	v_fma_f64 v[42:43], v[42:43], s[4:5], v[32:33]
	v_add_f64 v[32:33], v[36:37], v[34:35]
	v_add_f64 v[44:45], v[32:33], v[95:96]
	;; [unrolled: 1-line block ×3, first 2 shown]
	v_add_f64 v[34:35], v[34:35], -v[95:96]
	v_fma_f64 v[32:33], v[32:33], -0.5, v[36:37]
	v_fma_f64 v[36:37], v[46:47], s[4:5], v[32:33]
	v_fma_f64 v[52:53], v[46:47], s[6:7], v[32:33]
	v_add_f64 v[32:33], v[38:39], v[93:94]
	v_add_f64 v[46:47], v[32:33], v[97:98]
	;; [unrolled: 1-line block ×3, first 2 shown]
	v_fma_f64 v[32:33], v[32:33], -0.5, v[38:39]
	v_fma_f64 v[38:39], v[34:35], s[6:7], v[32:33]
	v_fma_f64 v[54:55], v[34:35], s[4:5], v[32:33]
	v_add_f64 v[32:33], v[48:49], v[99:100]
	v_add_f64 v[34:35], v[101:102], -v[130:131]
	v_add_f64 v[56:57], v[32:33], v[128:129]
	v_add_f64 v[32:33], v[99:100], v[128:129]
	v_fma_f64 v[32:33], v[32:33], -0.5, v[48:49]
	v_fma_f64 v[48:49], v[34:35], s[4:5], v[32:33]
	v_fma_f64 v[64:65], v[34:35], s[6:7], v[32:33]
	v_add_f64 v[32:33], v[50:51], v[101:102]
	v_add_f64 v[34:35], v[99:100], -v[128:129]
	v_add_f64 v[58:59], v[32:33], v[130:131]
	v_add_f64 v[32:33], v[101:102], v[130:131]
	;; [unrolled: 7-line block ×5, first 2 shown]
	v_fma_f64 v[32:33], v[32:33], -0.5, v[72:73]
	v_fma_f64 v[72:73], v[34:35], s[4:5], v[32:33]
	v_fma_f64 v[32:33], v[34:35], s[6:7], v[32:33]
	v_add_f64 v[34:35], v[74:75], v[142:143]
	v_add_f64 v[82:83], v[34:35], v[146:147]
	;; [unrolled: 1-line block ×3, first 2 shown]
	v_fma_f64 v[34:35], v[34:35], -0.5, v[74:75]
	v_fma_f64 v[74:75], v[84:85], s[6:7], v[34:35]
	v_fma_f64 v[34:35], v[84:85], s[4:5], v[34:35]
	buffer_load_dword v84, off, s[40:43], 0 offset:412 ; 4-byte Folded Reload
	s_waitcnt vmcnt(0)
	ds_write_b128 v84, v[4:7]
	ds_write_b128 v84, v[0:3] offset:288
	ds_write_b128 v84, v[40:43] offset:576
	buffer_load_dword v0, off, s[40:43], 0 offset:416 ; 4-byte Folded Reload
	s_waitcnt vmcnt(0)
	ds_write_b128 v0, v[44:47]
	ds_write_b128 v0, v[36:39] offset:288
	ds_write_b128 v0, v[52:55] offset:576
	;; [unrolled: 5-line block ×5, first 2 shown]
	s_waitcnt lgkmcnt(0)
	s_barrier
	ds_read_b128 v[0:3], v90
	ds_read_b128 v[156:159], v90 offset:4320
	ds_read_b128 v[152:155], v90 offset:8640
	;; [unrolled: 1-line block ×13, first 2 shown]
	s_and_saveexec_b64 s[4:5], s[2:3]
	s_cbranch_execz .LBB0_19
; %bb.18:
	ds_read_b128 v[32:35], v90 offset:4032
	ds_read_b128 v[28:31], v90 offset:8352
	;; [unrolled: 1-line block ×3, first 2 shown]
	s_waitcnt lgkmcnt(0)
	buffer_store_dword v4, off, s[40:43], 0 ; 4-byte Folded Spill
	s_nop 0
	buffer_store_dword v5, off, s[40:43], 0 offset:4 ; 4-byte Folded Spill
	buffer_store_dword v6, off, s[40:43], 0 offset:8 ; 4-byte Folded Spill
	buffer_store_dword v7, off, s[40:43], 0 offset:12 ; 4-byte Folded Spill
	ds_read_b128 v[4:7], v90 offset:16992
	s_waitcnt lgkmcnt(0)
	buffer_store_dword v4, off, s[40:43], 0 offset:16 ; 4-byte Folded Spill
	s_nop 0
	buffer_store_dword v5, off, s[40:43], 0 offset:20 ; 4-byte Folded Spill
	buffer_store_dword v6, off, s[40:43], 0 offset:24 ; 4-byte Folded Spill
	buffer_store_dword v7, off, s[40:43], 0 offset:28 ; 4-byte Folded Spill
	ds_read_b128 v[4:7], v90 offset:21312
	s_waitcnt lgkmcnt(0)
	buffer_store_dword v4, off, s[40:43], 0 offset:32 ; 4-byte Folded Spill
	;; [unrolled: 7-line block ×4, first 2 shown]
	s_nop 0
	buffer_store_dword v5, off, s[40:43], 0 offset:68 ; 4-byte Folded Spill
	buffer_store_dword v6, off, s[40:43], 0 offset:72 ; 4-byte Folded Spill
	;; [unrolled: 1-line block ×3, first 2 shown]
.LBB0_19:
	s_or_b64 exec, exec, s[4:5]
	buffer_load_dword v68, off, s[40:43], 0 offset:396 ; 4-byte Folded Reload
	buffer_load_dword v69, off, s[40:43], 0 offset:400 ; 4-byte Folded Reload
	;; [unrolled: 1-line block ×12, first 2 shown]
	s_waitcnt lgkmcnt(12)
	v_mul_f64 v[4:5], v[126:127], v[158:159]
	v_mul_f64 v[6:7], v[126:127], v[156:157]
	s_waitcnt lgkmcnt(11)
	v_mul_f64 v[56:57], v[122:123], v[154:155]
	v_mul_f64 v[58:59], v[122:123], v[152:153]
	;; [unrolled: 3-line block ×3, first 2 shown]
	v_mul_f64 v[60:61], v[114:115], v[150:151]
	v_mul_f64 v[62:63], v[114:115], v[148:149]
	v_fma_f64 v[4:5], v[124:125], v[156:157], v[4:5]
	v_fma_f64 v[6:7], v[124:125], v[158:159], -v[6:7]
	v_fma_f64 v[56:57], v[120:121], v[152:153], v[56:57]
	v_fma_f64 v[58:59], v[120:121], v[154:155], -v[58:59]
	;; [unrolled: 2-line block ×4, first 2 shown]
	s_mov_b32 s16, 0x37e14327
	s_mov_b32 s6, 0x36b3c0b5
	;; [unrolled: 1-line block ×18, first 2 shown]
	s_waitcnt lgkmcnt(5)
	v_mul_f64 v[76:77], v[106:107], v[134:135]
	s_mov_b32 s22, 0x37c3f68c
	s_mov_b32 s23, 0xbfdc38aa
	v_mul_f64 v[78:79], v[106:107], v[132:133]
	v_fma_f64 v[76:77], v[104:105], v[132:133], v[76:77]
	v_fma_f64 v[78:79], v[104:105], v[134:135], -v[78:79]
	s_waitcnt vmcnt(8)
	v_mul_f64 v[64:65], v[70:71], v[146:147]
	s_waitcnt vmcnt(4) lgkmcnt(4)
	v_mul_f64 v[80:81], v[86:87], v[130:131]
	v_mul_f64 v[82:83], v[86:87], v[128:129]
	;; [unrolled: 1-line block ×4, first 2 shown]
	v_fma_f64 v[64:65], v[68:69], v[144:145], v[64:65]
	v_fma_f64 v[80:81], v[84:85], v[128:129], v[80:81]
	v_fma_f64 v[82:83], v[84:85], v[130:131], -v[82:83]
	s_waitcnt vmcnt(0) lgkmcnt(3)
	v_mul_f64 v[84:85], v[93:94], v[54:55]
	v_fma_f64 v[66:67], v[68:69], v[146:147], -v[66:67]
	v_mul_f64 v[68:69], v[118:119], v[142:143]
	v_fma_f64 v[70:71], v[116:117], v[142:143], -v[70:71]
	v_fma_f64 v[84:85], v[91:92], v[52:53], v[84:85]
	v_mul_f64 v[52:53], v[93:94], v[52:53]
	buffer_load_dword v93, off, s[40:43], 0 offset:348 ; 4-byte Folded Reload
	buffer_load_dword v94, off, s[40:43], 0 offset:352 ; 4-byte Folded Reload
	;; [unrolled: 1-line block ×4, first 2 shown]
	v_fma_f64 v[68:69], v[116:117], v[140:141], v[68:69]
	v_fma_f64 v[86:87], v[91:92], v[54:55], -v[52:53]
	v_add_f64 v[54:55], v[62:63], v[66:67]
	s_waitcnt vmcnt(0) lgkmcnt(2)
	v_mul_f64 v[52:53], v[95:96], v[50:51]
	v_fma_f64 v[91:92], v[93:94], v[48:49], v[52:53]
	v_mul_f64 v[48:49], v[95:96], v[48:49]
	v_fma_f64 v[93:94], v[93:94], v[50:51], -v[48:49]
	buffer_load_dword v50, off, s[40:43], 0 offset:332 ; 4-byte Folded Reload
	buffer_load_dword v51, off, s[40:43], 0 offset:336 ; 4-byte Folded Reload
	buffer_load_dword v52, off, s[40:43], 0 offset:340 ; 4-byte Folded Reload
	buffer_load_dword v53, off, s[40:43], 0 offset:344 ; 4-byte Folded Reload
	s_waitcnt vmcnt(0) lgkmcnt(1)
	v_mul_f64 v[48:49], v[52:53], v[46:47]
	v_fma_f64 v[95:96], v[50:51], v[44:45], v[48:49]
	v_mul_f64 v[44:45], v[52:53], v[44:45]
	v_add_f64 v[52:53], v[60:61], v[64:65]
	v_fma_f64 v[97:98], v[50:51], v[46:47], -v[44:45]
	buffer_load_dword v46, off, s[40:43], 0 offset:316 ; 4-byte Folded Reload
	buffer_load_dword v47, off, s[40:43], 0 offset:320 ; 4-byte Folded Reload
	;; [unrolled: 1-line block ×4, first 2 shown]
	v_add_f64 v[50:51], v[58:59], -v[70:71]
	s_waitcnt vmcnt(0) lgkmcnt(0)
	s_barrier
	v_mul_f64 v[44:45], v[48:49], v[42:43]
	v_fma_f64 v[99:100], v[46:47], v[40:41], v[44:45]
	v_mul_f64 v[40:41], v[48:49], v[40:41]
	v_add_f64 v[44:45], v[56:57], v[68:69]
	v_add_f64 v[48:49], v[56:57], -v[68:69]
	v_add_f64 v[56:57], v[64:65], -v[60:61]
	v_fma_f64 v[101:102], v[46:47], v[42:43], -v[40:41]
	v_add_f64 v[40:41], v[4:5], v[72:73]
	v_add_f64 v[42:43], v[6:7], v[74:75]
	;; [unrolled: 1-line block ×3, first 2 shown]
	v_add_f64 v[4:5], v[4:5], -v[72:73]
	v_add_f64 v[58:59], v[66:67], -v[62:63]
	;; [unrolled: 1-line block ×3, first 2 shown]
	v_add_f64 v[68:69], v[56:57], v[48:49]
	v_add_f64 v[72:73], v[56:57], -v[48:49]
	v_add_f64 v[60:61], v[44:45], v[40:41]
	v_add_f64 v[64:65], v[44:45], -v[40:41]
	;; [unrolled: 2-line block ×3, first 2 shown]
	v_add_f64 v[40:41], v[40:41], -v[52:53]
	v_add_f64 v[42:43], v[42:43], -v[54:55]
	;; [unrolled: 1-line block ×4, first 2 shown]
	v_add_f64 v[70:71], v[58:59], v[50:51]
	v_add_f64 v[74:75], v[58:59], -v[50:51]
	v_add_f64 v[48:49], v[48:49], -v[4:5]
	v_add_f64 v[52:53], v[52:53], v[60:61]
	v_add_f64 v[54:55], v[54:55], v[62:63]
	v_add_f64 v[56:57], v[4:5], -v[56:57]
	v_add_f64 v[58:59], v[6:7], -v[58:59]
	;; [unrolled: 1-line block ×3, first 2 shown]
	v_add_f64 v[4:5], v[68:69], v[4:5]
	v_add_f64 v[6:7], v[70:71], v[6:7]
	v_mul_f64 v[40:41], v[40:41], s[16:17]
	v_add_f64 v[0:1], v[0:1], v[52:53]
	v_add_f64 v[2:3], v[2:3], v[54:55]
	v_mul_f64 v[42:43], v[42:43], s[16:17]
	v_mul_f64 v[60:61], v[44:45], s[6:7]
	;; [unrolled: 1-line block ×7, first 2 shown]
	v_fma_f64 v[52:53], v[52:53], s[26:27], v[0:1]
	v_fma_f64 v[54:55], v[54:55], s[26:27], v[2:3]
	;; [unrolled: 1-line block ×4, first 2 shown]
	v_fma_f64 v[60:61], v[64:65], s[14:15], -v[60:61]
	v_fma_f64 v[62:63], v[66:67], s[14:15], -v[62:63]
	;; [unrolled: 1-line block ×4, first 2 shown]
	v_fma_f64 v[64:65], v[56:57], s[28:29], v[68:69]
	v_fma_f64 v[66:67], v[58:59], s[28:29], v[70:71]
	v_fma_f64 v[48:49], v[48:49], s[4:5], -v[68:69]
	v_fma_f64 v[50:51], v[50:51], s[4:5], -v[70:71]
	;; [unrolled: 1-line block ×4, first 2 shown]
	v_add_f64 v[68:69], v[44:45], v[52:53]
	v_add_f64 v[70:71], v[46:47], v[54:55]
	;; [unrolled: 1-line block ×5, first 2 shown]
	v_fma_f64 v[66:67], v[6:7], s[22:23], v[66:67]
	v_fma_f64 v[72:73], v[4:5], s[22:23], v[48:49]
	;; [unrolled: 1-line block ×4, first 2 shown]
	v_add_f64 v[52:53], v[40:41], v[52:53]
	v_fma_f64 v[64:65], v[4:5], s[22:23], v[64:65]
	v_fma_f64 v[58:59], v[6:7], s[22:23], v[58:59]
	v_add_f64 v[74:75], v[82:83], -v[97:98]
	v_add_f64 v[4:5], v[66:67], v[68:69]
	v_add_f64 v[46:47], v[72:73], v[62:63]
	v_add_f64 v[44:45], v[60:61], -v[48:49]
	v_add_f64 v[42:43], v[54:55], -v[56:57]
	v_add_f64 v[48:49], v[48:49], v[60:61]
	v_add_f64 v[54:55], v[56:57], v[54:55]
	v_add_f64 v[56:57], v[68:69], -v[66:67]
	v_add_f64 v[60:61], v[76:77], v[99:100]
	v_add_f64 v[68:69], v[80:81], v[95:96]
	v_add_f64 v[6:7], v[70:71], -v[64:65]
	v_add_f64 v[40:41], v[58:59], v[52:53]
	v_add_f64 v[50:51], v[62:63], -v[72:73]
	v_add_f64 v[52:53], v[52:53], -v[58:59]
	v_add_f64 v[58:59], v[64:65], v[70:71]
	v_add_f64 v[64:65], v[76:77], -v[99:100]
	v_add_f64 v[70:71], v[82:83], v[97:98]
	;; [unrolled: 2-line block ×3, first 2 shown]
	v_add_f64 v[80:81], v[91:92], -v[84:85]
	v_add_f64 v[82:83], v[93:94], -v[86:87]
	v_add_f64 v[84:85], v[68:69], v[60:61]
	v_add_f64 v[62:63], v[78:79], v[101:102]
	v_add_f64 v[66:67], v[78:79], -v[101:102]
	v_add_f64 v[91:92], v[68:69], -v[60:61]
	v_add_f64 v[78:79], v[86:87], v[93:94]
	v_add_f64 v[60:61], v[60:61], -v[76:77]
	v_add_f64 v[68:69], v[76:77], -v[68:69]
	v_add_f64 v[95:96], v[80:81], v[72:73]
	v_add_f64 v[97:98], v[82:83], v[74:75]
	v_add_f64 v[99:100], v[80:81], -v[72:73]
	v_add_f64 v[101:102], v[82:83], -v[74:75]
	v_add_f64 v[76:77], v[76:77], v[84:85]
	v_add_f64 v[80:81], v[64:65], -v[80:81]
	v_add_f64 v[82:83], v[66:67], -v[82:83]
	;; [unrolled: 1-line block ×4, first 2 shown]
	v_add_f64 v[64:65], v[95:96], v[64:65]
	v_add_f64 v[66:67], v[97:98], v[66:67]
	v_mul_f64 v[84:85], v[68:69], s[6:7]
	v_add_f64 v[36:37], v[36:37], v[76:77]
	v_mul_f64 v[95:96], v[99:100], s[18:19]
	v_mul_f64 v[97:98], v[101:102], s[18:19]
	;; [unrolled: 1-line block ×5, first 2 shown]
	v_add_f64 v[86:87], v[70:71], v[62:63]
	v_fma_f64 v[84:85], v[91:92], s[14:15], -v[84:85]
	v_fma_f64 v[76:77], v[76:77], s[26:27], v[36:37]
	v_fma_f64 v[72:73], v[72:73], s[4:5], -v[95:96]
	v_fma_f64 v[74:75], v[74:75], s[4:5], -v[97:98]
	v_fma_f64 v[68:69], v[68:69], s[6:7], v[60:61]
	v_fma_f64 v[60:61], v[91:92], s[20:21], -v[60:61]
	v_fma_f64 v[91:92], v[80:81], s[28:29], v[95:96]
	v_fma_f64 v[80:81], v[80:81], s[24:25], -v[99:100]
	v_add_f64 v[93:94], v[70:71], -v[62:63]
	v_add_f64 v[84:85], v[84:85], v[76:77]
	v_fma_f64 v[99:100], v[64:65], s[22:23], v[72:73]
	v_fma_f64 v[72:73], v[66:67], s[22:23], v[74:75]
	v_add_f64 v[95:96], v[68:69], v[76:77]
	v_add_f64 v[62:63], v[62:63], -v[78:79]
	v_add_f64 v[70:71], v[78:79], -v[70:71]
	v_add_f64 v[78:79], v[78:79], v[86:87]
	v_fma_f64 v[91:92], v[64:65], s[22:23], v[91:92]
	v_add_f64 v[76:77], v[60:61], v[76:77]
	v_fma_f64 v[80:81], v[64:65], s[22:23], v[80:81]
	v_add_f64 v[68:69], v[84:85], -v[72:73]
	v_add_f64 v[72:73], v[72:73], v[84:85]
	buffer_load_dword v84, off, s[40:43], 0 offset:504 ; 4-byte Folded Reload
	v_mul_f64 v[62:63], v[62:63], s[16:17]
	v_add_f64 v[38:39], v[38:39], v[78:79]
	v_mul_f64 v[86:87], v[70:71], s[6:7]
	s_waitcnt vmcnt(0)
	ds_write_b128 v84, v[0:3]
	ds_write_b128 v84, v[4:7] offset:864
	ds_write_b128 v84, v[40:43] offset:1728
	;; [unrolled: 1-line block ×6, first 2 shown]
	buffer_load_dword v0, off, s[40:43], 0 offset:508 ; 4-byte Folded Reload
	v_fma_f64 v[78:79], v[78:79], s[26:27], v[38:39]
	v_fma_f64 v[70:71], v[70:71], s[6:7], v[62:63]
	v_fma_f64 v[86:87], v[93:94], s[14:15], -v[86:87]
	v_fma_f64 v[62:63], v[93:94], s[20:21], -v[62:63]
	v_fma_f64 v[93:94], v[82:83], s[28:29], v[97:98]
	v_fma_f64 v[82:83], v[82:83], s[24:25], -v[101:102]
	v_add_f64 v[97:98], v[70:71], v[78:79]
	v_add_f64 v[86:87], v[86:87], v[78:79]
	;; [unrolled: 1-line block ×3, first 2 shown]
	v_fma_f64 v[93:94], v[66:67], s[22:23], v[93:94]
	v_fma_f64 v[82:83], v[66:67], s[22:23], v[82:83]
	v_add_f64 v[62:63], v[97:98], -v[91:92]
	v_add_f64 v[70:71], v[99:100], v[86:87]
	v_add_f64 v[66:67], v[78:79], -v[80:81]
	v_add_f64 v[60:61], v[93:94], v[95:96]
	v_add_f64 v[64:65], v[82:83], v[76:77]
	v_add_f64 v[74:75], v[86:87], -v[99:100]
	v_add_f64 v[76:77], v[76:77], -v[82:83]
	v_add_f64 v[78:79], v[80:81], v[78:79]
	v_add_f64 v[80:81], v[95:96], -v[93:94]
	v_add_f64 v[82:83], v[91:92], v[97:98]
	s_waitcnt vmcnt(0)
	ds_write_b128 v0, v[36:39]
	ds_write_b128 v0, v[60:63] offset:864
	ds_write_b128 v0, v[64:67] offset:1728
	;; [unrolled: 1-line block ×6, first 2 shown]
	s_and_saveexec_b64 s[30:31], s[2:3]
	s_cbranch_execz .LBB0_21
; %bb.20:
	buffer_load_dword v50, off, s[40:43], 0 offset:512 ; 4-byte Folded Reload
	buffer_load_dword v51, off, s[40:43], 0 offset:516 ; 4-byte Folded Reload
	buffer_load_dword v52, off, s[40:43], 0 offset:520 ; 4-byte Folded Reload
	buffer_load_dword v53, off, s[40:43], 0 offset:524 ; 4-byte Folded Reload
	buffer_load_dword v80, off, s[40:43], 0 offset:32 ; 4-byte Folded Reload
	buffer_load_dword v81, off, s[40:43], 0 offset:36 ; 4-byte Folded Reload
	buffer_load_dword v82, off, s[40:43], 0 offset:40 ; 4-byte Folded Reload
	buffer_load_dword v83, off, s[40:43], 0 offset:44 ; 4-byte Folded Reload
	buffer_load_dword v54, off, s[40:43], 0 offset:528 ; 4-byte Folded Reload
	buffer_load_dword v55, off, s[40:43], 0 offset:532 ; 4-byte Folded Reload
	buffer_load_dword v56, off, s[40:43], 0 offset:536 ; 4-byte Folded Reload
	buffer_load_dword v57, off, s[40:43], 0 offset:540 ; 4-byte Folded Reload
	buffer_load_dword v76, off, s[40:43], 0 offset:16 ; 4-byte Folded Reload
	buffer_load_dword v77, off, s[40:43], 0 offset:20 ; 4-byte Folded Reload
	buffer_load_dword v78, off, s[40:43], 0 offset:24 ; 4-byte Folded Reload
	buffer_load_dword v79, off, s[40:43], 0 offset:28 ; 4-byte Folded Reload
	buffer_load_dword v62, off, s[40:43], 0 offset:560 ; 4-byte Folded Reload
	buffer_load_dword v63, off, s[40:43], 0 offset:564 ; 4-byte Folded Reload
	buffer_load_dword v64, off, s[40:43], 0 offset:568 ; 4-byte Folded Reload
	buffer_load_dword v65, off, s[40:43], 0 offset:572 ; 4-byte Folded Reload
	buffer_load_dword v66, off, s[40:43], 0 offset:576 ; 4-byte Folded Reload
	buffer_load_dword v67, off, s[40:43], 0 offset:580 ; 4-byte Folded Reload
	buffer_load_dword v68, off, s[40:43], 0 offset:584 ; 4-byte Folded Reload
	buffer_load_dword v69, off, s[40:43], 0 offset:588 ; 4-byte Folded Reload
	buffer_load_dword v91, off, s[40:43], 0 offset:64 ; 4-byte Folded Reload
	buffer_load_dword v92, off, s[40:43], 0 offset:68 ; 4-byte Folded Reload
	buffer_load_dword v93, off, s[40:43], 0 offset:72 ; 4-byte Folded Reload
	buffer_load_dword v94, off, s[40:43], 0 offset:76 ; 4-byte Folded Reload
	s_waitcnt vmcnt(20)
	v_mul_f64 v[0:1], v[52:53], v[82:83]
	s_waitcnt vmcnt(12)
	v_mul_f64 v[2:3], v[56:57], v[78:79]
	;; [unrolled: 2-line block ×4, first 2 shown]
	v_mul_f64 v[36:37], v[68:69], v[91:92]
	buffer_load_dword v68, off, s[40:43], 0 offset:592 ; 4-byte Folded Reload
	buffer_load_dword v69, off, s[40:43], 0 offset:596 ; 4-byte Folded Reload
	;; [unrolled: 1-line block ×12, first 2 shown]
	buffer_load_dword v72, off, s[40:43], 0 ; 4-byte Folded Reload
	buffer_load_dword v73, off, s[40:43], 0 offset:4 ; 4-byte Folded Reload
	buffer_load_dword v74, off, s[40:43], 0 offset:8 ; 4-byte Folded Reload
	;; [unrolled: 1-line block ×3, first 2 shown]
	v_mul_f64 v[4:5], v[64:65], v[30:31]
	v_mul_f64 v[48:49], v[52:53], v[80:81]
	v_fma_f64 v[0:1], v[50:51], v[80:81], v[0:1]
	v_fma_f64 v[30:31], v[62:63], v[30:31], -v[38:39]
	v_mul_f64 v[38:39], v[56:57], v[76:77]
	v_fma_f64 v[36:37], v[66:67], v[93:94], -v[36:37]
	v_fma_f64 v[2:3], v[54:55], v[76:77], v[2:3]
	v_fma_f64 v[6:7], v[66:67], v[91:92], v[6:7]
	;; [unrolled: 1-line block ×3, first 2 shown]
	v_fma_f64 v[28:29], v[54:55], v[78:79], -v[38:39]
	v_fma_f64 v[38:39], v[50:51], v[82:83], -v[48:49]
	v_add_f64 v[48:49], v[30:31], v[36:37]
	v_add_f64 v[52:53], v[0:1], -v[2:3]
	v_add_f64 v[66:67], v[2:3], v[0:1]
	v_add_f64 v[30:31], v[30:31], -v[36:37]
	;; [unrolled: 2-line block ×3, first 2 shown]
	s_waitcnt vmcnt(10)
	v_mul_f64 v[40:41], v[70:71], v[84:85]
	s_waitcnt vmcnt(2)
	v_mul_f64 v[42:43], v[60:61], v[72:73]
	;; [unrolled: 2-line block ×3, first 2 shown]
	v_mul_f64 v[46:47], v[70:71], v[86:87]
	v_add_f64 v[60:61], v[4:5], -v[6:7]
	v_add_f64 v[4:5], v[4:5], v[6:7]
	v_add_f64 v[6:7], v[48:49], -v[56:57]
	v_fma_f64 v[40:41], v[68:69], v[86:87], -v[40:41]
	v_fma_f64 v[42:43], v[58:59], v[74:75], -v[42:43]
	v_fma_f64 v[44:45], v[58:59], v[72:73], v[44:45]
	v_fma_f64 v[46:47], v[68:69], v[84:85], v[46:47]
	v_add_f64 v[36:37], v[4:5], -v[66:67]
	v_mul_f64 v[68:69], v[6:7], s[16:17]
	v_add_f64 v[50:51], v[42:43], v[40:41]
	v_add_f64 v[38:39], v[42:43], -v[40:41]
	v_add_f64 v[54:55], v[44:45], -v[46:47]
	v_add_f64 v[44:45], v[44:45], v[46:47]
	v_mul_f64 v[36:37], v[36:37], s[16:17]
	v_add_f64 v[58:59], v[50:51], v[48:49]
	v_add_f64 v[6:7], v[56:57], -v[50:51]
	v_add_f64 v[62:63], v[52:53], -v[54:55]
	v_add_f64 v[64:65], v[44:45], v[4:5]
	v_add_f64 v[40:41], v[54:55], -v[60:61]
	v_add_f64 v[48:49], v[50:51], -v[48:49]
	;; [unrolled: 1-line block ×4, first 2 shown]
	v_add_f64 v[46:47], v[56:57], v[58:59]
	v_add_f64 v[58:59], v[60:61], -v[52:53]
	v_mul_f64 v[62:63], v[62:63], s[18:19]
	v_add_f64 v[52:53], v[52:53], v[54:55]
	v_mul_f64 v[50:51], v[6:7], s[6:7]
	v_add_f64 v[2:3], v[34:35], v[46:47]
	v_fma_f64 v[56:57], v[58:59], s[28:29], v[62:63]
	v_add_f64 v[34:35], v[52:53], v[60:61]
	v_add_f64 v[52:53], v[66:67], v[64:65]
	v_fma_f64 v[64:65], v[6:7], s[6:7], v[68:69]
	v_mul_f64 v[60:61], v[40:41], s[4:5]
	v_add_f64 v[66:67], v[38:39], -v[30:31]
	v_fma_f64 v[46:47], v[46:47], s[26:27], v[2:3]
	v_fma_f64 v[40:41], v[40:41], s[4:5], -v[62:63]
	v_add_f64 v[0:1], v[32:33], v[52:53]
	v_fma_f64 v[32:33], v[34:35], s[22:23], v[56:57]
	v_add_f64 v[56:57], v[28:29], -v[38:39]
	v_fma_f64 v[58:59], v[58:59], s[24:25], -v[60:61]
	v_add_f64 v[54:55], v[64:65], v[46:47]
	v_add_f64 v[64:65], v[30:31], -v[28:29]
	v_add_f64 v[28:29], v[28:29], v[38:39]
	v_fma_f64 v[60:61], v[48:49], s[20:21], -v[68:69]
	v_fma_f64 v[52:53], v[52:53], s[26:27], v[0:1]
	v_mul_f64 v[38:39], v[42:43], s[6:7]
	v_mul_f64 v[56:57], v[56:57], s[18:19]
	v_fma_f64 v[42:43], v[42:43], s[6:7], v[36:37]
	v_fma_f64 v[36:37], v[4:5], s[20:21], -v[36:37]
	v_mul_f64 v[44:45], v[66:67], s[4:5]
	v_add_f64 v[28:29], v[28:29], v[30:31]
	v_fma_f64 v[30:31], v[48:49], s[14:15], -v[50:51]
	v_fma_f64 v[48:49], v[34:35], s[22:23], v[58:59]
	v_add_f64 v[50:51], v[60:61], v[46:47]
	v_fma_f64 v[68:69], v[64:65], s[28:29], v[56:57]
	v_fma_f64 v[4:5], v[4:5], s[14:15], -v[38:39]
	v_fma_f64 v[38:39], v[66:67], s[4:5], -v[56:57]
	v_add_f64 v[56:57], v[42:43], v[52:53]
	v_fma_f64 v[44:45], v[64:65], s[24:25], -v[44:45]
	v_add_f64 v[46:47], v[30:31], v[46:47]
	v_fma_f64 v[40:41], v[34:35], s[22:23], v[40:41]
	v_add_f64 v[30:31], v[48:49], v[50:51]
	v_add_f64 v[42:43], v[50:51], -v[48:49]
	buffer_load_dword v48, off, s[40:43], 0 offset:496 ; 4-byte Folded Reload
	v_fma_f64 v[58:59], v[28:29], s[22:23], v[68:69]
	v_add_f64 v[60:61], v[36:37], v[52:53]
	v_fma_f64 v[62:63], v[28:29], s[22:23], v[44:45]
	v_add_f64 v[4:5], v[4:5], v[52:53]
	v_fma_f64 v[28:29], v[28:29], s[22:23], v[38:39]
	v_add_f64 v[34:35], v[46:47], -v[40:41]
	v_add_f64 v[38:39], v[40:41], v[46:47]
	v_add_f64 v[46:47], v[54:55], -v[32:33]
	v_add_f64 v[44:45], v[58:59], v[56:57]
	v_add_f64 v[6:7], v[32:33], v[54:55]
	v_add_f64 v[40:41], v[62:63], v[60:61]
	v_add_f64 v[36:37], v[4:5], -v[28:29]
	v_add_f64 v[32:33], v[28:29], v[4:5]
	v_add_f64 v[28:29], v[60:61], -v[62:63]
	v_add_f64 v[4:5], v[56:57], -v[58:59]
	s_waitcnt vmcnt(0)
	ds_write_b128 v48, v[0:3] offset:24192
	ds_write_b128 v48, v[44:47] offset:25056
	;; [unrolled: 1-line block ×7, first 2 shown]
.LBB0_21:
	s_or_b64 exec, exec, s[30:31]
	buffer_load_dword v0, off, s[40:43], 0 offset:164 ; 4-byte Folded Reload
	buffer_load_dword v1, off, s[40:43], 0 offset:168 ; 4-byte Folded Reload
	s_waitcnt vmcnt(0) lgkmcnt(0)
	s_barrier
	ds_read_b128 v[2:5], v90
	ds_read_b128 v[28:31], v90 offset:2016
	ds_read_b128 v[32:35], v90 offset:12096
	;; [unrolled: 1-line block ×11, first 2 shown]
	s_waitcnt lgkmcnt(5)
	v_mul_f64 v[6:7], v[222:223], v[50:51]
	v_mul_f64 v[84:85], v[222:223], v[48:49]
	v_mul_f64 v[86:87], v[230:231], v[34:35]
	s_waitcnt lgkmcnt(1)
	v_mul_f64 v[93:94], v[226:227], v[66:67]
	v_mul_f64 v[91:92], v[230:231], v[32:33]
	;; [unrolled: 1-line block ×4, first 2 shown]
	ds_read_b128 v[72:75], v90 offset:20160
	ds_read_b128 v[76:79], v90 offset:22176
	;; [unrolled: 1-line block ×3, first 2 shown]
	v_fma_f64 v[48:49], v[220:221], v[48:49], v[6:7]
	v_mul_f64 v[6:7], v[218:219], v[42:43]
	v_fma_f64 v[50:51], v[220:221], v[50:51], -v[84:85]
	v_mul_f64 v[84:85], v[250:251], v[58:59]
	v_fma_f64 v[32:33], v[228:229], v[32:33], v[86:87]
	v_fma_f64 v[64:65], v[224:225], v[64:65], v[93:94]
	v_mul_f64 v[86:87], v[10:11], v[38:39]
	v_mul_f64 v[10:11], v[10:11], v[36:37]
	v_fma_f64 v[66:67], v[224:225], v[66:67], -v[95:96]
	v_fma_f64 v[40:41], v[216:217], v[40:41], v[6:7]
	v_mul_f64 v[6:7], v[250:251], v[56:57]
	v_fma_f64 v[56:57], v[248:249], v[56:57], v[84:85]
	v_mul_f64 v[84:85], v[246:247], v[46:47]
	v_fma_f64 v[42:43], v[216:217], v[42:43], -v[97:98]
	v_mul_f64 v[95:96], v[246:247], v[44:45]
	v_fma_f64 v[36:37], v[8:9], v[36:37], v[86:87]
	v_fma_f64 v[38:39], v[8:9], v[38:39], -v[10:11]
	v_mul_f64 v[8:9], v[22:23], v[60:61]
	v_fma_f64 v[58:59], v[248:249], v[58:59], -v[6:7]
	v_mul_f64 v[6:7], v[22:23], v[62:63]
	v_fma_f64 v[44:45], v[244:245], v[44:45], v[84:85]
	s_waitcnt lgkmcnt(3)
	v_mul_f64 v[10:11], v[26:27], v[70:71]
	v_add_f64 v[22:23], v[2:3], v[48:49]
	v_add_f64 v[84:85], v[32:33], v[64:65]
	v_fma_f64 v[34:35], v[228:229], v[34:35], -v[91:92]
	v_mul_f64 v[26:27], v[26:27], v[68:69]
	v_fma_f64 v[62:63], v[20:21], v[62:63], -v[8:9]
	v_fma_f64 v[60:61], v[20:21], v[60:61], v[6:7]
	s_waitcnt lgkmcnt(1)
	v_mul_f64 v[6:7], v[18:19], v[78:79]
	v_mul_f64 v[18:19], v[18:19], v[76:77]
	v_fma_f64 v[68:69], v[24:25], v[68:69], v[10:11]
	v_add_f64 v[8:9], v[22:23], v[32:33]
	v_fma_f64 v[10:11], v[84:85], -0.5, v[2:3]
	v_add_f64 v[20:21], v[50:51], -v[42:43]
	v_add_f64 v[22:23], v[48:49], v[40:41]
	s_mov_b32 s4, 0x4755a5e
	v_fma_f64 v[76:77], v[16:17], v[76:77], v[6:7]
	v_fma_f64 v[78:79], v[16:17], v[78:79], -v[18:19]
	s_waitcnt lgkmcnt(0)
	v_mul_f64 v[6:7], v[14:15], v[82:83]
	v_mul_f64 v[14:15], v[14:15], v[80:81]
	v_add_f64 v[8:9], v[8:9], v[64:65]
	v_add_f64 v[18:19], v[34:35], -v[66:67]
	s_mov_b32 s5, 0xbfe2cf23
	v_fma_f64 v[70:71], v[24:25], v[70:71], -v[26:27]
	v_add_f64 v[24:25], v[48:49], -v[32:33]
	v_add_f64 v[26:27], v[40:41], -v[64:65]
	v_fma_f64 v[80:81], v[12:13], v[80:81], v[6:7]
	v_fma_f64 v[82:83], v[12:13], v[82:83], -v[14:15]
	v_add_f64 v[6:7], v[8:9], v[40:41]
	v_fma_f64 v[2:3], v[22:23], -0.5, v[2:3]
	v_add_f64 v[14:15], v[4:5], v[50:51]
	s_mov_b32 s7, 0x3fee6f0e
	v_mul_f64 v[91:92], v[254:255], v[74:75]
	v_add_f64 v[12:13], v[24:25], v[26:27]
	v_add_f64 v[24:25], v[32:33], -v[48:49]
	v_add_f64 v[26:27], v[64:65], -v[40:41]
	v_add_f64 v[40:41], v[48:49], -v[40:41]
	v_add_f64 v[48:49], v[50:51], v[42:43]
	v_add_f64 v[14:15], v[14:15], v[34:35]
	s_mov_b32 s15, 0x3fe2cf23
	s_mov_b32 s14, s4
	v_mul_f64 v[93:94], v[254:255], v[72:73]
	v_fma_f64 v[72:73], v[252:253], v[72:73], v[91:92]
	v_add_f64 v[32:33], v[32:33], -v[64:65]
	s_mov_b32 s16, 0x372fe950
	s_mov_b32 s17, 0x3fd3c6ef
	v_fma_f64 v[46:47], v[244:245], v[46:47], -v[95:96]
	v_mov_b32_e32 v89, v0
	v_mad_u64_u32 v[0:1], s[2:3], s10, v89, 0
	s_mov_b32 s2, 0x134454ff
	s_mov_b32 s3, 0xbfee6f0e
	v_fma_f64 v[16:17], v[20:21], s[2:3], v[10:11]
	s_mov_b32 s6, s2
	v_fma_f64 v[10:11], v[20:21], s[6:7], v[10:11]
	v_fma_f64 v[22:23], v[18:19], s[6:7], v[2:3]
	;; [unrolled: 1-line block ×3, first 2 shown]
	v_fma_f64 v[74:75], v[252:253], v[74:75], -v[93:94]
	v_add_f64 v[84:85], v[72:73], -v[44:45]
	v_fma_f64 v[8:9], v[18:19], s[4:5], v[16:17]
	v_add_f64 v[16:17], v[34:35], v[66:67]
	v_fma_f64 v[10:11], v[18:19], s[14:15], v[10:11]
	v_fma_f64 v[18:19], v[20:21], s[4:5], v[22:23]
	v_add_f64 v[22:23], v[24:25], v[26:27]
	v_fma_f64 v[20:21], v[20:21], s[14:15], v[2:3]
	v_add_f64 v[24:25], v[14:15], v[66:67]
	v_fma_f64 v[2:3], v[12:13], s[16:17], v[8:9]
	v_fma_f64 v[16:17], v[16:17], -0.5, v[4:5]
	v_fma_f64 v[4:5], v[48:49], -0.5, v[4:5]
	v_fma_f64 v[10:11], v[12:13], s[16:17], v[10:11]
	v_fma_f64 v[14:15], v[22:23], s[16:17], v[18:19]
	;; [unrolled: 1-line block ×3, first 2 shown]
	v_add_f64 v[8:9], v[24:25], v[42:43]
	v_add_f64 v[20:21], v[50:51], -v[34:35]
	v_add_f64 v[22:23], v[42:43], -v[66:67]
	v_fma_f64 v[26:27], v[40:41], s[6:7], v[16:17]
	v_add_f64 v[24:25], v[28:29], v[56:57]
	v_fma_f64 v[16:17], v[40:41], s[2:3], v[16:17]
	v_fma_f64 v[48:49], v[32:33], s[2:3], v[4:5]
	v_add_f64 v[34:35], v[34:35], -v[50:51]
	v_add_f64 v[42:43], v[66:67], -v[42:43]
	v_fma_f64 v[4:5], v[32:33], s[6:7], v[4:5]
	v_add_f64 v[20:21], v[20:21], v[22:23]
	v_fma_f64 v[12:13], v[32:33], s[14:15], v[26:27]
	v_add_f64 v[26:27], v[36:37], v[72:73]
	v_add_f64 v[22:23], v[24:25], v[36:37]
	v_fma_f64 v[16:17], v[32:33], s[4:5], v[16:17]
	v_add_f64 v[50:51], v[58:59], -v[46:47]
	v_add_f64 v[32:33], v[34:35], v[42:43]
	v_fma_f64 v[34:35], v[40:41], s[4:5], v[4:5]
	v_add_f64 v[66:67], v[36:37], -v[56:57]
	v_fma_f64 v[4:5], v[20:21], s[16:17], v[12:13]
	v_fma_f64 v[24:25], v[26:27], -0.5, v[28:29]
	v_fma_f64 v[26:27], v[40:41], s[14:15], v[48:49]
	v_add_f64 v[40:41], v[56:57], v[44:45]
	v_fma_f64 v[12:13], v[20:21], s[16:17], v[16:17]
	v_add_f64 v[48:49], v[38:39], -v[74:75]
	v_add_f64 v[22:23], v[22:23], v[72:73]
	v_fma_f64 v[20:21], v[32:33], s[16:17], v[34:35]
	v_fma_f64 v[42:43], v[50:51], s[2:3], v[24:25]
	;; [unrolled: 1-line block ×3, first 2 shown]
	v_fma_f64 v[26:27], v[40:41], -0.5, v[28:29]
	v_add_f64 v[28:29], v[56:57], -v[36:37]
	v_add_f64 v[32:33], v[44:45], -v[72:73]
	v_fma_f64 v[24:25], v[50:51], s[6:7], v[24:25]
	v_add_f64 v[22:23], v[22:23], v[44:45]
	v_add_f64 v[40:41], v[30:31], v[58:59]
	v_fma_f64 v[34:35], v[48:49], s[4:5], v[42:43]
	v_add_f64 v[42:43], v[38:39], v[74:75]
	v_fma_f64 v[64:65], v[48:49], s[6:7], v[26:27]
	v_add_f64 v[44:45], v[56:57], -v[44:45]
	v_add_f64 v[28:29], v[28:29], v[32:33]
	v_fma_f64 v[24:25], v[48:49], s[14:15], v[24:25]
	v_fma_f64 v[48:49], v[48:49], s[2:3], v[26:27]
	v_add_f64 v[40:41], v[40:41], v[38:39]
	v_fma_f64 v[42:43], v[42:43], -0.5, v[30:31]
	v_fma_f64 v[56:57], v[50:51], s[4:5], v[64:65]
	v_add_f64 v[64:65], v[66:67], v[84:85]
	v_fma_f64 v[26:27], v[28:29], s[16:17], v[34:35]
	v_fma_f64 v[32:33], v[28:29], s[16:17], v[24:25]
	;; [unrolled: 1-line block ×3, first 2 shown]
	v_add_f64 v[34:35], v[58:59], v[46:47]
	v_add_f64 v[50:51], v[36:37], -v[72:73]
	v_add_f64 v[28:29], v[40:41], v[74:75]
	v_fma_f64 v[48:49], v[44:45], s[6:7], v[42:43]
	v_fma_f64 v[36:37], v[64:65], s[16:17], v[56:57]
	v_add_f64 v[56:57], v[68:69], v[76:77]
	v_add_f64 v[66:67], v[58:59], -v[38:39]
	v_add_f64 v[72:73], v[46:47], -v[74:75]
	v_fma_f64 v[40:41], v[64:65], s[16:17], v[24:25]
	v_fma_f64 v[30:31], v[34:35], -0.5, v[30:31]
	v_add_f64 v[64:65], v[62:63], -v[82:83]
	v_fma_f64 v[42:43], v[44:45], s[2:3], v[42:43]
	v_add_f64 v[24:25], v[28:29], v[46:47]
	v_fma_f64 v[56:57], v[56:57], -0.5, v[52:53]
	v_fma_f64 v[28:29], v[50:51], s[14:15], v[48:49]
	v_add_f64 v[34:35], v[52:53], v[60:61]
	v_add_f64 v[48:49], v[66:67], v[72:73]
	v_fma_f64 v[66:67], v[50:51], s[2:3], v[30:31]
	v_add_f64 v[38:39], v[38:39], -v[58:59]
	v_add_f64 v[46:47], v[74:75], -v[46:47]
	v_fma_f64 v[30:31], v[50:51], s[6:7], v[30:31]
	v_fma_f64 v[58:59], v[64:65], s[2:3], v[56:57]
	v_add_f64 v[72:73], v[70:71], -v[78:79]
	v_add_f64 v[74:75], v[60:61], -v[68:69]
	;; [unrolled: 1-line block ×3, first 2 shown]
	v_fma_f64 v[42:43], v[50:51], s[4:5], v[42:43]
	v_add_f64 v[50:51], v[60:61], v[80:81]
	v_add_f64 v[34:35], v[34:35], v[68:69]
	v_add_f64 v[46:47], v[38:39], v[46:47]
	v_fma_f64 v[30:31], v[44:45], s[4:5], v[30:31]
	v_fma_f64 v[58:59], v[72:73], s[4:5], v[58:59]
	;; [unrolled: 1-line block ×3, first 2 shown]
	v_add_f64 v[74:75], v[74:75], v[84:85]
	v_fma_f64 v[28:29], v[48:49], s[16:17], v[28:29]
	v_fma_f64 v[50:51], v[50:51], -0.5, v[52:53]
	v_add_f64 v[44:45], v[34:35], v[76:77]
	v_fma_f64 v[34:35], v[48:49], s[16:17], v[42:43]
	v_fma_f64 v[42:43], v[46:47], s[16:17], v[30:31]
	v_add_f64 v[30:31], v[70:71], v[78:79]
	v_fma_f64 v[38:39], v[46:47], s[16:17], v[66:67]
	v_fma_f64 v[48:49], v[74:75], s[16:17], v[58:59]
	v_add_f64 v[58:59], v[62:63], v[82:83]
	v_fma_f64 v[52:53], v[72:73], s[6:7], v[50:51]
	v_add_f64 v[44:45], v[44:45], v[80:81]
	v_fma_f64 v[46:47], v[64:65], s[6:7], v[56:57]
	v_add_f64 v[56:57], v[68:69], -v[60:61]
	v_add_f64 v[66:67], v[76:77], -v[80:81]
	v_add_f64 v[84:85], v[54:55], v[62:63]
	v_fma_f64 v[30:31], v[30:31], -0.5, v[54:55]
	v_add_f64 v[60:61], v[60:61], -v[80:81]
	v_fma_f64 v[80:81], v[64:65], s[4:5], v[52:53]
	v_add_f64 v[52:53], v[68:69], -v[76:77]
	v_fma_f64 v[54:55], v[58:59], -0.5, v[54:55]
	v_fma_f64 v[46:47], v[72:73], s[14:15], v[46:47]
	v_add_f64 v[58:59], v[56:57], v[66:67]
	v_fma_f64 v[50:51], v[72:73], s[2:3], v[50:51]
	v_add_f64 v[56:57], v[84:85], v[70:71]
	v_fma_f64 v[66:67], v[60:61], s[6:7], v[30:31]
	v_add_f64 v[68:69], v[62:63], -v[70:71]
	v_add_f64 v[72:73], v[82:83], -v[78:79]
	v_fma_f64 v[30:31], v[60:61], s[2:3], v[30:31]
	v_fma_f64 v[76:77], v[52:53], s[2:3], v[54:55]
	v_add_f64 v[62:63], v[70:71], -v[62:63]
	v_add_f64 v[70:71], v[78:79], -v[82:83]
	v_fma_f64 v[54:55], v[52:53], s[6:7], v[54:55]
	v_fma_f64 v[50:51], v[64:65], s[14:15], v[50:51]
	v_add_f64 v[64:65], v[56:57], v[78:79]
	v_fma_f64 v[66:67], v[52:53], s[14:15], v[66:67]
	v_add_f64 v[68:69], v[68:69], v[72:73]
	v_fma_f64 v[30:31], v[52:53], s[4:5], v[30:31]
	v_fma_f64 v[72:73], v[60:61], s[14:15], v[76:77]
	v_add_f64 v[62:63], v[62:63], v[70:71]
	v_fma_f64 v[70:71], v[60:61], s[4:5], v[54:55]
	v_fma_f64 v[52:53], v[74:75], s[16:17], v[46:47]
	;; [unrolled: 1-line block ×4, first 2 shown]
	v_add_f64 v[46:47], v[64:65], v[82:83]
	v_fma_f64 v[50:51], v[68:69], s[16:17], v[66:67]
	v_fma_f64 v[54:55], v[68:69], s[16:17], v[30:31]
	;; [unrolled: 1-line block ×4, first 2 shown]
	ds_write_b128 v90, v[6:9]
	ds_write_b128 v90, v[2:5] offset:6048
	ds_write_b128 v90, v[14:17] offset:12096
	;; [unrolled: 1-line block ×14, first 2 shown]
	s_waitcnt lgkmcnt(0)
	s_barrier
	ds_read_b128 v[2:5], v90
	ds_read_b128 v[6:9], v90 offset:2016
	buffer_load_dword v15, off, s[40:43], 0 offset:300 ; 4-byte Folded Reload
	buffer_load_dword v16, off, s[40:43], 0 offset:304 ; 4-byte Folded Reload
	;; [unrolled: 1-line block ×4, first 2 shown]
	v_mov_b32_e32 v24, s13
	s_mul_hi_u32 s7, s8, 0xfffffccd
	s_waitcnt lgkmcnt(1)
	v_mad_u64_u32 v[12:13], s[2:3], s11, v89, v[1:2]
	s_mul_i32 s6, s9, 0xfffffccd
	s_sub_i32 s7, s7, s8
	v_mov_b32_e32 v1, v12
	v_lshlrev_b64 v[0:1], 4, v[0:1]
	s_add_i32 s7, s7, s6
	v_add_co_u32_e32 v25, vcc, s12, v0
	v_addc_co_u32_e32 v24, vcc, v24, v1, vcc
	s_mul_i32 s6, s8, 0xfffffccd
	s_lshl_b64 s[6:7], s[6:7], 4
	v_mov_b32_e32 v31, s7
	s_waitcnt vmcnt(0)
	v_mul_f64 v[10:11], v[17:18], v[4:5]
	v_mul_f64 v[13:14], v[17:18], v[2:3]
	v_mad_u64_u32 v[18:19], s[2:3], s8, v103, 0
	s_mov_b32 s2, 0xbc011567
	s_mov_b32 s3, 0x3f41566a
	v_fma_f64 v[10:11], v[15:16], v[2:3], v[10:11]
	v_mov_b32_e32 v2, v19
	v_fma_f64 v[12:13], v[15:16], v[4:5], -v[13:14]
	v_mad_u64_u32 v[14:15], s[4:5], s9, v103, v[2:3]
	ds_read_b128 v[2:5], v90 offset:15120
	s_mul_i32 s4, s9, 0x3b1
	v_mov_b32_e32 v19, v14
	ds_read_b128 v[14:17], v90 offset:12096
	buffer_load_dword v26, off, s[40:43], 0 offset:84 ; 4-byte Folded Reload
	buffer_load_dword v27, off, s[40:43], 0 offset:88 ; 4-byte Folded Reload
	;; [unrolled: 1-line block ×4, first 2 shown]
	v_mul_f64 v[10:11], v[10:11], s[2:3]
	v_mul_f64 v[12:13], v[12:13], s[2:3]
	s_mul_hi_u32 s5, s8, 0x3b1
	s_add_i32 s5, s5, s4
	s_mul_i32 s4, s8, 0x3b1
	s_lshl_b64 s[4:5], s[4:5], 4
	v_mov_b32_e32 v30, s5
	s_waitcnt vmcnt(0) lgkmcnt(1)
	v_mul_f64 v[20:21], v[28:29], v[4:5]
	v_mul_f64 v[22:23], v[28:29], v[2:3]
	v_fma_f64 v[0:1], v[26:27], v[2:3], v[20:21]
	v_lshlrev_b64 v[2:3], 4, v[18:19]
	v_fma_f64 v[4:5], v[26:27], v[4:5], -v[22:23]
	v_add_co_u32_e32 v18, vcc, v25, v2
	v_addc_co_u32_e32 v19, vcc, v24, v3, vcc
	global_store_dwordx4 v[18:19], v[10:13], off
	buffer_load_dword v20, off, s[40:43], 0 offset:100 ; 4-byte Folded Reload
	buffer_load_dword v21, off, s[40:43], 0 offset:104 ; 4-byte Folded Reload
	buffer_load_dword v22, off, s[40:43], 0 offset:108 ; 4-byte Folded Reload
	buffer_load_dword v23, off, s[40:43], 0 offset:112 ; 4-byte Folded Reload
	v_mul_f64 v[0:1], v[0:1], s[2:3]
	v_mul_f64 v[2:3], v[4:5], s[2:3]
	v_add_co_u32_e32 v12, vcc, s4, v18
	v_addc_co_u32_e32 v13, vcc, v19, v30, vcc
	global_store_dwordx4 v[12:13], v[0:3], off
	v_add_co_u32_e32 v12, vcc, s6, v12
	v_addc_co_u32_e32 v13, vcc, v13, v31, vcc
	s_waitcnt vmcnt(1)
	v_mul_f64 v[10:11], v[22:23], v[8:9]
	v_mul_f64 v[4:5], v[22:23], v[6:7]
	v_fma_f64 v[6:7], v[20:21], v[6:7], v[10:11]
	v_fma_f64 v[8:9], v[20:21], v[8:9], -v[4:5]
	v_mul_f64 v[0:1], v[6:7], s[2:3]
	ds_read_b128 v[4:7], v90 offset:17136
	v_mul_f64 v[2:3], v[8:9], s[2:3]
	ds_read_b128 v[8:11], v90 offset:19152
	buffer_load_dword v26, off, s[40:43], 0 offset:148 ; 4-byte Folded Reload
	buffer_load_dword v27, off, s[40:43], 0 offset:152 ; 4-byte Folded Reload
	;; [unrolled: 1-line block ×4, first 2 shown]
	ds_read_b128 v[18:21], v90 offset:4032
	s_waitcnt vmcnt(0) lgkmcnt(2)
	v_mul_f64 v[22:23], v[28:29], v[6:7]
	v_mul_f64 v[24:25], v[28:29], v[4:5]
	v_fma_f64 v[22:23], v[26:27], v[4:5], v[22:23]
	v_fma_f64 v[24:25], v[26:27], v[6:7], -v[24:25]
	ds_read_b128 v[4:7], v90 offset:6048
	buffer_load_dword v32, off, s[40:43], 0 offset:116 ; 4-byte Folded Reload
	buffer_load_dword v33, off, s[40:43], 0 offset:120 ; 4-byte Folded Reload
	;; [unrolled: 1-line block ×4, first 2 shown]
	s_waitcnt vmcnt(0) lgkmcnt(1)
	v_mul_f64 v[26:27], v[34:35], v[20:21]
	v_mul_f64 v[28:29], v[34:35], v[18:19]
	global_store_dwordx4 v[12:13], v[0:3], off
	v_add_co_u32_e32 v12, vcc, s4, v12
	v_mul_f64 v[0:1], v[22:23], s[2:3]
	v_mul_f64 v[2:3], v[24:25], s[2:3]
	v_addc_co_u32_e32 v13, vcc, v13, v30, vcc
	v_fma_f64 v[18:19], v[32:33], v[18:19], v[26:27]
	v_fma_f64 v[20:21], v[32:33], v[20:21], -v[28:29]
	buffer_load_dword v26, off, s[40:43], 0 offset:132 ; 4-byte Folded Reload
	buffer_load_dword v27, off, s[40:43], 0 offset:136 ; 4-byte Folded Reload
	;; [unrolled: 1-line block ×4, first 2 shown]
	s_waitcnt vmcnt(0)
	v_mul_f64 v[22:23], v[28:29], v[10:11]
	v_mul_f64 v[24:25], v[28:29], v[8:9]
	global_store_dwordx4 v[12:13], v[0:3], off
	v_add_co_u32_e32 v12, vcc, s6, v12
	v_mul_f64 v[0:1], v[18:19], s[2:3]
	v_mul_f64 v[2:3], v[20:21], s[2:3]
	v_addc_co_u32_e32 v13, vcc, v13, v31, vcc
	v_fma_f64 v[8:9], v[26:27], v[8:9], v[22:23]
	v_fma_f64 v[18:19], v[26:27], v[10:11], -v[24:25]
	buffer_load_dword v24, off, s[40:43], 0 offset:188 ; 4-byte Folded Reload
	buffer_load_dword v25, off, s[40:43], 0 offset:192 ; 4-byte Folded Reload
	;; [unrolled: 1-line block ×4, first 2 shown]
	s_waitcnt vmcnt(0) lgkmcnt(0)
	v_mul_f64 v[20:21], v[26:27], v[6:7]
	v_mul_f64 v[22:23], v[26:27], v[4:5]
	global_store_dwordx4 v[12:13], v[0:3], off
	v_add_co_u32_e32 v12, vcc, s4, v12
	v_mul_f64 v[0:1], v[8:9], s[2:3]
	ds_read_b128 v[8:11], v90 offset:21168
	v_mul_f64 v[2:3], v[18:19], s[2:3]
	v_fma_f64 v[18:19], v[24:25], v[4:5], v[20:21]
	v_fma_f64 v[22:23], v[24:25], v[6:7], -v[22:23]
	ds_read_b128 v[4:7], v90 offset:23184
	buffer_load_dword v32, off, s[40:43], 0 offset:220 ; 4-byte Folded Reload
	buffer_load_dword v33, off, s[40:43], 0 offset:224 ; 4-byte Folded Reload
	buffer_load_dword v34, off, s[40:43], 0 offset:228 ; 4-byte Folded Reload
	buffer_load_dword v35, off, s[40:43], 0 offset:232 ; 4-byte Folded Reload
	v_addc_co_u32_e32 v13, vcc, v13, v30, vcc
	global_store_dwordx4 v[12:13], v[0:3], off
	s_nop 0
	v_mul_f64 v[0:1], v[18:19], s[2:3]
	ds_read_b128 v[18:21], v90 offset:8064
	v_mul_f64 v[2:3], v[22:23], s[2:3]
	v_add_co_u32_e32 v12, vcc, s6, v12
	v_addc_co_u32_e32 v13, vcc, v13, v31, vcc
	s_waitcnt vmcnt(1) lgkmcnt(2)
	v_mul_f64 v[24:25], v[34:35], v[10:11]
	v_mul_f64 v[26:27], v[34:35], v[8:9]
	v_fma_f64 v[22:23], v[32:33], v[8:9], v[24:25]
	v_fma_f64 v[24:25], v[32:33], v[10:11], -v[26:27]
	ds_read_b128 v[8:11], v90 offset:10080
	buffer_load_dword v32, off, s[40:43], 0 offset:172 ; 4-byte Folded Reload
	buffer_load_dword v33, off, s[40:43], 0 offset:176 ; 4-byte Folded Reload
	;; [unrolled: 1-line block ×4, first 2 shown]
	s_waitcnt vmcnt(0) lgkmcnt(1)
	v_mul_f64 v[26:27], v[34:35], v[20:21]
	v_mul_f64 v[28:29], v[34:35], v[18:19]
	global_store_dwordx4 v[12:13], v[0:3], off
	v_add_co_u32_e32 v12, vcc, s4, v12
	v_mul_f64 v[0:1], v[22:23], s[2:3]
	v_mul_f64 v[2:3], v[24:25], s[2:3]
	v_addc_co_u32_e32 v13, vcc, v13, v30, vcc
	v_fma_f64 v[18:19], v[32:33], v[18:19], v[26:27]
	v_fma_f64 v[20:21], v[32:33], v[20:21], -v[28:29]
	buffer_load_dword v26, off, s[40:43], 0 offset:204 ; 4-byte Folded Reload
	buffer_load_dword v27, off, s[40:43], 0 offset:208 ; 4-byte Folded Reload
	;; [unrolled: 1-line block ×4, first 2 shown]
	s_waitcnt vmcnt(0)
	v_mul_f64 v[22:23], v[28:29], v[6:7]
	v_mul_f64 v[24:25], v[28:29], v[4:5]
	global_store_dwordx4 v[12:13], v[0:3], off
	v_add_co_u32_e32 v12, vcc, s6, v12
	v_mul_f64 v[0:1], v[18:19], s[2:3]
	v_mul_f64 v[2:3], v[20:21], s[2:3]
	v_addc_co_u32_e32 v13, vcc, v13, v31, vcc
	v_fma_f64 v[4:5], v[26:27], v[4:5], v[22:23]
	v_fma_f64 v[18:19], v[26:27], v[6:7], -v[24:25]
	buffer_load_dword v24, off, s[40:43], 0 offset:284 ; 4-byte Folded Reload
	buffer_load_dword v25, off, s[40:43], 0 offset:288 ; 4-byte Folded Reload
	;; [unrolled: 1-line block ×4, first 2 shown]
	s_waitcnt vmcnt(0) lgkmcnt(0)
	v_mul_f64 v[20:21], v[26:27], v[10:11]
	v_mul_f64 v[22:23], v[26:27], v[8:9]
	global_store_dwordx4 v[12:13], v[0:3], off
	v_add_co_u32_e32 v12, vcc, s4, v12
	v_mul_f64 v[0:1], v[4:5], s[2:3]
	ds_read_b128 v[4:7], v90 offset:25200
	v_mul_f64 v[2:3], v[18:19], s[2:3]
	v_fma_f64 v[18:19], v[24:25], v[8:9], v[20:21]
	v_fma_f64 v[20:21], v[24:25], v[10:11], -v[22:23]
	ds_read_b128 v[8:11], v90 offset:27216
	buffer_load_dword v26, off, s[40:43], 0 offset:236 ; 4-byte Folded Reload
	buffer_load_dword v27, off, s[40:43], 0 offset:240 ; 4-byte Folded Reload
	;; [unrolled: 1-line block ×4, first 2 shown]
	v_addc_co_u32_e32 v13, vcc, v13, v30, vcc
	global_store_dwordx4 v[12:13], v[0:3], off
	s_nop 0
	v_mul_f64 v[0:1], v[18:19], s[2:3]
	v_mul_f64 v[2:3], v[20:21], s[2:3]
	v_add_co_u32_e32 v12, vcc, s6, v12
	v_addc_co_u32_e32 v13, vcc, v13, v31, vcc
	s_waitcnt vmcnt(1) lgkmcnt(1)
	v_mul_f64 v[22:23], v[28:29], v[6:7]
	v_mul_f64 v[24:25], v[28:29], v[4:5]
	v_fma_f64 v[4:5], v[26:27], v[4:5], v[22:23]
	v_fma_f64 v[6:7], v[26:27], v[6:7], -v[24:25]
	buffer_load_dword v26, off, s[40:43], 0 offset:252 ; 4-byte Folded Reload
	buffer_load_dword v27, off, s[40:43], 0 offset:256 ; 4-byte Folded Reload
	;; [unrolled: 1-line block ×8, first 2 shown]
	s_waitcnt vmcnt(4)
	v_mul_f64 v[18:19], v[28:29], v[16:17]
	v_mul_f64 v[20:21], v[28:29], v[14:15]
	s_waitcnt vmcnt(0) lgkmcnt(0)
	v_mul_f64 v[22:23], v[34:35], v[10:11]
	v_mul_f64 v[24:25], v[34:35], v[8:9]
	global_store_dwordx4 v[12:13], v[0:3], off
	v_add_co_u32_e32 v12, vcc, s4, v12
	v_mul_f64 v[0:1], v[4:5], s[2:3]
	v_mul_f64 v[2:3], v[6:7], s[2:3]
	v_fma_f64 v[4:5], v[26:27], v[14:15], v[18:19]
	v_fma_f64 v[6:7], v[26:27], v[16:17], -v[20:21]
	v_fma_f64 v[8:9], v[32:33], v[8:9], v[22:23]
	v_fma_f64 v[10:11], v[32:33], v[10:11], -v[24:25]
	v_addc_co_u32_e32 v13, vcc, v13, v30, vcc
	global_store_dwordx4 v[12:13], v[0:3], off
	v_mul_f64 v[4:5], v[4:5], s[2:3]
	v_mul_f64 v[6:7], v[6:7], s[2:3]
	;; [unrolled: 1-line block ×4, first 2 shown]
	v_add_co_u32_e32 v0, vcc, s6, v12
	v_addc_co_u32_e32 v1, vcc, v13, v31, vcc
	global_store_dwordx4 v[0:1], v[4:7], off
	v_add_co_u32_e32 v0, vcc, s4, v0
	v_addc_co_u32_e32 v1, vcc, v1, v30, vcc
	global_store_dwordx4 v[0:1], v[8:11], off
	s_and_b64 exec, exec, s[0:1]
	s_cbranch_execz .LBB0_23
; %bb.22:
	buffer_load_dword v16, off, s[40:43], 0 offset:80 ; 4-byte Folded Reload
	v_add_co_u32_e32 v2, vcc, 0x3000, v88
	s_movk_i32 s0, 0x7000
	s_waitcnt vmcnt(0)
	v_addc_co_u32_e32 v3, vcc, 0, v16, vcc
	global_load_dwordx4 v[2:5], v[2:3], off offset:1824
	ds_read_b128 v[6:9], v90 offset:14112
	ds_read_b128 v[10:13], v90 offset:29232
	s_waitcnt vmcnt(0) lgkmcnt(1)
	v_mul_f64 v[14:15], v[8:9], v[4:5]
	v_mul_f64 v[4:5], v[6:7], v[4:5]
	v_fma_f64 v[6:7], v[6:7], v[2:3], v[14:15]
	v_fma_f64 v[4:5], v[2:3], v[8:9], -v[4:5]
	v_mov_b32_e32 v8, s7
	v_mul_f64 v[2:3], v[6:7], s[2:3]
	v_mul_f64 v[4:5], v[4:5], s[2:3]
	v_add_co_u32_e32 v6, vcc, s6, v0
	v_addc_co_u32_e32 v7, vcc, v1, v8, vcc
	v_add_co_u32_e32 v0, vcc, s0, v88
	v_addc_co_u32_e32 v1, vcc, 0, v16, vcc
	global_store_dwordx4 v[6:7], v[2:5], off
	global_load_dwordx4 v[0:3], v[0:1], off offset:560
	s_waitcnt vmcnt(0) lgkmcnt(0)
	v_mul_f64 v[4:5], v[12:13], v[2:3]
	v_mul_f64 v[2:3], v[10:11], v[2:3]
	v_fma_f64 v[4:5], v[10:11], v[0:1], v[4:5]
	v_fma_f64 v[2:3], v[0:1], v[12:13], -v[2:3]
	v_mul_f64 v[0:1], v[4:5], s[2:3]
	v_mul_f64 v[2:3], v[2:3], s[2:3]
	v_mov_b32_e32 v5, s5
	v_add_co_u32_e32 v4, vcc, s4, v6
	v_addc_co_u32_e32 v5, vcc, v7, v5, vcc
	global_store_dwordx4 v[4:5], v[0:3], off
.LBB0_23:
	s_endpgm
	.section	.rodata,"a",@progbits
	.p2align	6, 0x0
	.amdhsa_kernel bluestein_single_back_len1890_dim1_dp_op_CI_CI
		.amdhsa_group_segment_fixed_size 30240
		.amdhsa_private_segment_fixed_size 612
		.amdhsa_kernarg_size 104
		.amdhsa_user_sgpr_count 6
		.amdhsa_user_sgpr_private_segment_buffer 1
		.amdhsa_user_sgpr_dispatch_ptr 0
		.amdhsa_user_sgpr_queue_ptr 0
		.amdhsa_user_sgpr_kernarg_segment_ptr 1
		.amdhsa_user_sgpr_dispatch_id 0
		.amdhsa_user_sgpr_flat_scratch_init 0
		.amdhsa_user_sgpr_private_segment_size 0
		.amdhsa_uses_dynamic_stack 0
		.amdhsa_system_sgpr_private_segment_wavefront_offset 1
		.amdhsa_system_sgpr_workgroup_id_x 1
		.amdhsa_system_sgpr_workgroup_id_y 0
		.amdhsa_system_sgpr_workgroup_id_z 0
		.amdhsa_system_sgpr_workgroup_info 0
		.amdhsa_system_vgpr_workitem_id 0
		.amdhsa_next_free_vgpr 256
		.amdhsa_next_free_sgpr 44
		.amdhsa_reserve_vcc 1
		.amdhsa_reserve_flat_scratch 0
		.amdhsa_float_round_mode_32 0
		.amdhsa_float_round_mode_16_64 0
		.amdhsa_float_denorm_mode_32 3
		.amdhsa_float_denorm_mode_16_64 3
		.amdhsa_dx10_clamp 1
		.amdhsa_ieee_mode 1
		.amdhsa_fp16_overflow 0
		.amdhsa_exception_fp_ieee_invalid_op 0
		.amdhsa_exception_fp_denorm_src 0
		.amdhsa_exception_fp_ieee_div_zero 0
		.amdhsa_exception_fp_ieee_overflow 0
		.amdhsa_exception_fp_ieee_underflow 0
		.amdhsa_exception_fp_ieee_inexact 0
		.amdhsa_exception_int_div_zero 0
	.end_amdhsa_kernel
	.text
.Lfunc_end0:
	.size	bluestein_single_back_len1890_dim1_dp_op_CI_CI, .Lfunc_end0-bluestein_single_back_len1890_dim1_dp_op_CI_CI
                                        ; -- End function
	.section	.AMDGPU.csdata,"",@progbits
; Kernel info:
; codeLenInByte = 26844
; NumSgprs: 48
; NumVgprs: 256
; ScratchSize: 612
; MemoryBound: 0
; FloatMode: 240
; IeeeMode: 1
; LDSByteSize: 30240 bytes/workgroup (compile time only)
; SGPRBlocks: 5
; VGPRBlocks: 63
; NumSGPRsForWavesPerEU: 48
; NumVGPRsForWavesPerEU: 256
; Occupancy: 1
; WaveLimiterHint : 1
; COMPUTE_PGM_RSRC2:SCRATCH_EN: 1
; COMPUTE_PGM_RSRC2:USER_SGPR: 6
; COMPUTE_PGM_RSRC2:TRAP_HANDLER: 0
; COMPUTE_PGM_RSRC2:TGID_X_EN: 1
; COMPUTE_PGM_RSRC2:TGID_Y_EN: 0
; COMPUTE_PGM_RSRC2:TGID_Z_EN: 0
; COMPUTE_PGM_RSRC2:TIDIG_COMP_CNT: 0
	.type	__hip_cuid_da83b2dd16825038,@object ; @__hip_cuid_da83b2dd16825038
	.section	.bss,"aw",@nobits
	.globl	__hip_cuid_da83b2dd16825038
__hip_cuid_da83b2dd16825038:
	.byte	0                               ; 0x0
	.size	__hip_cuid_da83b2dd16825038, 1

	.ident	"AMD clang version 19.0.0git (https://github.com/RadeonOpenCompute/llvm-project roc-6.4.0 25133 c7fe45cf4b819c5991fe208aaa96edf142730f1d)"
	.section	".note.GNU-stack","",@progbits
	.addrsig
	.addrsig_sym __hip_cuid_da83b2dd16825038
	.amdgpu_metadata
---
amdhsa.kernels:
  - .args:
      - .actual_access:  read_only
        .address_space:  global
        .offset:         0
        .size:           8
        .value_kind:     global_buffer
      - .actual_access:  read_only
        .address_space:  global
        .offset:         8
        .size:           8
        .value_kind:     global_buffer
      - .actual_access:  read_only
        .address_space:  global
        .offset:         16
        .size:           8
        .value_kind:     global_buffer
      - .actual_access:  read_only
        .address_space:  global
        .offset:         24
        .size:           8
        .value_kind:     global_buffer
      - .actual_access:  read_only
        .address_space:  global
        .offset:         32
        .size:           8
        .value_kind:     global_buffer
      - .offset:         40
        .size:           8
        .value_kind:     by_value
      - .address_space:  global
        .offset:         48
        .size:           8
        .value_kind:     global_buffer
      - .address_space:  global
        .offset:         56
        .size:           8
        .value_kind:     global_buffer
      - .address_space:  global
        .offset:         64
        .size:           8
        .value_kind:     global_buffer
      - .address_space:  global
        .offset:         72
        .size:           8
        .value_kind:     global_buffer
      - .offset:         80
        .size:           4
        .value_kind:     by_value
      - .address_space:  global
        .offset:         88
        .size:           8
        .value_kind:     global_buffer
      - .address_space:  global
        .offset:         96
        .size:           8
        .value_kind:     global_buffer
    .group_segment_fixed_size: 30240
    .kernarg_segment_align: 8
    .kernarg_segment_size: 104
    .language:       OpenCL C
    .language_version:
      - 2
      - 0
    .max_flat_workgroup_size: 126
    .name:           bluestein_single_back_len1890_dim1_dp_op_CI_CI
    .private_segment_fixed_size: 612
    .sgpr_count:     48
    .sgpr_spill_count: 0
    .symbol:         bluestein_single_back_len1890_dim1_dp_op_CI_CI.kd
    .uniform_work_group_size: 1
    .uses_dynamic_stack: false
    .vgpr_count:     256
    .vgpr_spill_count: 172
    .wavefront_size: 64
amdhsa.target:   amdgcn-amd-amdhsa--gfx906
amdhsa.version:
  - 1
  - 2
...

	.end_amdgpu_metadata
